;; amdgpu-corpus repo=ROCm/rocSOLVER kind=compiled arch=gfx90a opt=O3
	.text
	.amdgcn_target "amdgcn-amd-amdhsa--gfx90a"
	.amdhsa_code_object_version 6
	.section	.text._ZN9rocsolver6v33100L37conj_unit_forward_substitution_kernelI19rocblas_complex_numIfEiPS3_EEvT0_S5_T1_S5_S5_llS6_S5_S5_ll,"axG",@progbits,_ZN9rocsolver6v33100L37conj_unit_forward_substitution_kernelI19rocblas_complex_numIfEiPS3_EEvT0_S5_T1_S5_S5_llS6_S5_S5_ll,comdat
	.globl	_ZN9rocsolver6v33100L37conj_unit_forward_substitution_kernelI19rocblas_complex_numIfEiPS3_EEvT0_S5_T1_S5_S5_llS6_S5_S5_ll ; -- Begin function _ZN9rocsolver6v33100L37conj_unit_forward_substitution_kernelI19rocblas_complex_numIfEiPS3_EEvT0_S5_T1_S5_S5_llS6_S5_S5_ll
	.p2align	8
	.type	_ZN9rocsolver6v33100L37conj_unit_forward_substitution_kernelI19rocblas_complex_numIfEiPS3_EEvT0_S5_T1_S5_S5_llS6_S5_S5_ll,@function
_ZN9rocsolver6v33100L37conj_unit_forward_substitution_kernelI19rocblas_complex_numIfEiPS3_EEvT0_S5_T1_S5_S5_llS6_S5_S5_ll: ; @_ZN9rocsolver6v33100L37conj_unit_forward_substitution_kernelI19rocblas_complex_numIfEiPS3_EEvT0_S5_T1_S5_S5_llS6_S5_S5_ll
; %bb.0:
	s_load_dword s0, s[4:5], 0x54
	s_load_dwordx2 s[10:11], s[4:5], 0x0
	v_bfe_u32 v5, v0, 10, 10
	s_waitcnt lgkmcnt(0)
	s_lshr_b32 s0, s0, 16
	s_mul_i32 s7, s7, s0
	v_add_u32_e32 v1, s7, v5
	v_cmp_gt_i32_e32 vcc, s11, v1
	s_and_saveexec_b64 s[0:1], vcc
	s_cbranch_execz .LBB0_9
; %bb.1:
	s_load_dwordx8 s[12:19], s[4:5], 0x28
	s_ashr_i32 s9, s8, 31
	v_and_b32_e32 v8, 0x3ff, v0
	s_waitcnt lgkmcnt(0)
	s_mul_i32 s0, s8, s19
	s_mul_hi_u32 s1, s8, s18
	s_mul_i32 s2, s9, s18
	s_add_i32 s0, s1, s0
	s_add_i32 s1, s0, s2
	s_mul_i32 s0, s8, s18
	s_lshl_b64 s[0:1], s[0:1], 3
	s_add_u32 s2, s12, s0
	s_addc_u32 s3, s13, s1
	s_lshl_b64 s[0:1], s[16:17], 3
	s_add_u32 s2, s2, s0
	v_mul_lo_u32 v0, v8, s14
	s_addc_u32 s3, s3, s1
	v_mad_u64_u32 v[0:1], s[0:1], v1, s15, v[0:1]
	v_ashrrev_i32_e32 v1, 31, v0
	v_lshlrev_b64 v[0:1], 3, v[0:1]
	v_mov_b32_e32 v2, s3
	v_add_co_u32_e32 v0, vcc, s2, v0
	v_addc_co_u32_e32 v1, vcc, v2, v1, vcc
	global_load_dwordx2 v[2:3], v[0:1], off
	s_cmp_lt_i32 s10, 2
	s_cbranch_scc1 .LBB0_8
; %bb.2:
	s_load_dwordx8 s[0:7], s[4:5], 0x8
	v_lshl_add_u32 v9, v5, 3, 0
	s_waitcnt lgkmcnt(0)
	v_mul_lo_u32 v4, v8, s2
	s_mul_i32 s2, s8, s7
	s_mul_hi_u32 s7, s8, s6
	s_mul_i32 s9, s9, s6
	s_add_i32 s2, s7, s2
	s_mul_i32 s6, s8, s6
	s_add_i32 s7, s2, s9
	s_lshl_b64 s[6:7], s[6:7], 3
	s_add_u32 s2, s0, s6
	s_addc_u32 s6, s1, s7
	s_lshl_b64 s[0:1], s[4:5], 3
	s_add_u32 s2, s2, s0
	s_addc_u32 s4, s6, s1
	s_mov_b32 s5, 0
	s_add_i32 s6, s10, -1
	s_branch .LBB0_4
.LBB0_3:                                ;   in Loop: Header=BB0_4 Depth=1
	s_or_b64 exec, exec, s[0:1]
	s_add_i32 s5, s5, 1
	s_waitcnt vmcnt(0)
	v_pk_add_f32 v[2:3], v[2:3], v[6:7] neg_lo:[0,1] neg_hi:[0,1]
	s_cmp_eq_u32 s6, s5
	v_add_u32_e32 v4, s3, v4
	s_cbranch_scc1 .LBB0_8
.LBB0_4:                                ; =>This Inner Loop Header: Depth=1
	v_cmp_eq_u32_e32 vcc, s5, v8
	s_barrier
	s_and_saveexec_b64 s[0:1], vcc
	s_cbranch_execz .LBB0_6
; %bb.5:                                ;   in Loop: Header=BB0_4 Depth=1
	s_waitcnt vmcnt(0)
	ds_write_b64 v9, v[2:3]
.LBB0_6:                                ;   in Loop: Header=BB0_4 Depth=1
	s_or_b64 exec, exec, s[0:1]
	v_cmp_lt_u32_e32 vcc, s5, v8
	v_mov_b32_e32 v6, 0
	v_mov_b32_e32 v7, 0
	s_waitcnt lgkmcnt(0)
	s_barrier
	s_and_saveexec_b64 s[0:1], vcc
	s_cbranch_execz .LBB0_3
; %bb.7:                                ;   in Loop: Header=BB0_4 Depth=1
	v_ashrrev_i32_e32 v5, 31, v4
	v_lshlrev_b64 v[6:7], 3, v[4:5]
	v_mov_b32_e32 v5, s4
	v_add_co_u32_e32 v6, vcc, s2, v6
	v_addc_co_u32_e32 v7, vcc, v5, v7, vcc
	global_load_dwordx2 v[6:7], v[6:7], off
	ds_read_b64 v[10:11], v9
	s_waitcnt vmcnt(0) lgkmcnt(0)
	v_pk_mul_f32 v[14:15], v[6:7], v[10:11] op_sel:[1,0]
	v_pk_mul_f32 v[12:13], v[6:7], v[10:11] op_sel_hi:[0,1]
	v_pk_fma_f32 v[6:7], v[6:7], v[10:11], v[14:15] op_sel:[0,0,1] op_sel_hi:[0,1,0] neg_lo:[0,0,1] neg_hi:[0,0,1]
	v_add_f32_e32 v6, v12, v15
	s_branch .LBB0_3
.LBB0_8:
	s_waitcnt vmcnt(0)
	global_store_dwordx2 v[0:1], v[2:3], off
.LBB0_9:
	s_endpgm
	.section	.rodata,"a",@progbits
	.p2align	6, 0x0
	.amdhsa_kernel _ZN9rocsolver6v33100L37conj_unit_forward_substitution_kernelI19rocblas_complex_numIfEiPS3_EEvT0_S5_T1_S5_S5_llS6_S5_S5_ll
		.amdhsa_group_segment_fixed_size 0
		.amdhsa_private_segment_fixed_size 0
		.amdhsa_kernarg_size 328
		.amdhsa_user_sgpr_count 6
		.amdhsa_user_sgpr_private_segment_buffer 1
		.amdhsa_user_sgpr_dispatch_ptr 0
		.amdhsa_user_sgpr_queue_ptr 0
		.amdhsa_user_sgpr_kernarg_segment_ptr 1
		.amdhsa_user_sgpr_dispatch_id 0
		.amdhsa_user_sgpr_flat_scratch_init 0
		.amdhsa_user_sgpr_kernarg_preload_length 0
		.amdhsa_user_sgpr_kernarg_preload_offset 0
		.amdhsa_user_sgpr_private_segment_size 0
		.amdhsa_uses_dynamic_stack 0
		.amdhsa_system_sgpr_private_segment_wavefront_offset 0
		.amdhsa_system_sgpr_workgroup_id_x 1
		.amdhsa_system_sgpr_workgroup_id_y 1
		.amdhsa_system_sgpr_workgroup_id_z 1
		.amdhsa_system_sgpr_workgroup_info 0
		.amdhsa_system_vgpr_workitem_id 1
		.amdhsa_next_free_vgpr 16
		.amdhsa_next_free_sgpr 20
		.amdhsa_accum_offset 16
		.amdhsa_reserve_vcc 1
		.amdhsa_reserve_flat_scratch 0
		.amdhsa_float_round_mode_32 0
		.amdhsa_float_round_mode_16_64 0
		.amdhsa_float_denorm_mode_32 3
		.amdhsa_float_denorm_mode_16_64 3
		.amdhsa_dx10_clamp 1
		.amdhsa_ieee_mode 1
		.amdhsa_fp16_overflow 0
		.amdhsa_tg_split 0
		.amdhsa_exception_fp_ieee_invalid_op 0
		.amdhsa_exception_fp_denorm_src 0
		.amdhsa_exception_fp_ieee_div_zero 0
		.amdhsa_exception_fp_ieee_overflow 0
		.amdhsa_exception_fp_ieee_underflow 0
		.amdhsa_exception_fp_ieee_inexact 0
		.amdhsa_exception_int_div_zero 0
	.end_amdhsa_kernel
	.section	.text._ZN9rocsolver6v33100L37conj_unit_forward_substitution_kernelI19rocblas_complex_numIfEiPS3_EEvT0_S5_T1_S5_S5_llS6_S5_S5_ll,"axG",@progbits,_ZN9rocsolver6v33100L37conj_unit_forward_substitution_kernelI19rocblas_complex_numIfEiPS3_EEvT0_S5_T1_S5_S5_llS6_S5_S5_ll,comdat
.Lfunc_end0:
	.size	_ZN9rocsolver6v33100L37conj_unit_forward_substitution_kernelI19rocblas_complex_numIfEiPS3_EEvT0_S5_T1_S5_S5_llS6_S5_S5_ll, .Lfunc_end0-_ZN9rocsolver6v33100L37conj_unit_forward_substitution_kernelI19rocblas_complex_numIfEiPS3_EEvT0_S5_T1_S5_S5_llS6_S5_S5_ll
                                        ; -- End function
	.section	.AMDGPU.csdata,"",@progbits
; Kernel info:
; codeLenInByte = 452
; NumSgprs: 24
; NumVgprs: 16
; NumAgprs: 0
; TotalNumVgprs: 16
; ScratchSize: 0
; MemoryBound: 0
; FloatMode: 240
; IeeeMode: 1
; LDSByteSize: 0 bytes/workgroup (compile time only)
; SGPRBlocks: 2
; VGPRBlocks: 1
; NumSGPRsForWavesPerEU: 24
; NumVGPRsForWavesPerEU: 16
; AccumOffset: 16
; Occupancy: 8
; WaveLimiterHint : 0
; COMPUTE_PGM_RSRC2:SCRATCH_EN: 0
; COMPUTE_PGM_RSRC2:USER_SGPR: 6
; COMPUTE_PGM_RSRC2:TRAP_HANDLER: 0
; COMPUTE_PGM_RSRC2:TGID_X_EN: 1
; COMPUTE_PGM_RSRC2:TGID_Y_EN: 1
; COMPUTE_PGM_RSRC2:TGID_Z_EN: 1
; COMPUTE_PGM_RSRC2:TIDIG_COMP_CNT: 1
; COMPUTE_PGM_RSRC3_GFX90A:ACCUM_OFFSET: 3
; COMPUTE_PGM_RSRC3_GFX90A:TG_SPLIT: 0
	.section	.text._ZN9rocsolver6v33100L40conj_nonunit_forward_substitution_kernelI19rocblas_complex_numIfEiPS3_EEvT0_S5_T1_S5_S5_llS6_S5_S5_ll,"axG",@progbits,_ZN9rocsolver6v33100L40conj_nonunit_forward_substitution_kernelI19rocblas_complex_numIfEiPS3_EEvT0_S5_T1_S5_S5_llS6_S5_S5_ll,comdat
	.globl	_ZN9rocsolver6v33100L40conj_nonunit_forward_substitution_kernelI19rocblas_complex_numIfEiPS3_EEvT0_S5_T1_S5_S5_llS6_S5_S5_ll ; -- Begin function _ZN9rocsolver6v33100L40conj_nonunit_forward_substitution_kernelI19rocblas_complex_numIfEiPS3_EEvT0_S5_T1_S5_S5_llS6_S5_S5_ll
	.p2align	8
	.type	_ZN9rocsolver6v33100L40conj_nonunit_forward_substitution_kernelI19rocblas_complex_numIfEiPS3_EEvT0_S5_T1_S5_S5_llS6_S5_S5_ll,@function
_ZN9rocsolver6v33100L40conj_nonunit_forward_substitution_kernelI19rocblas_complex_numIfEiPS3_EEvT0_S5_T1_S5_S5_llS6_S5_S5_ll: ; @_ZN9rocsolver6v33100L40conj_nonunit_forward_substitution_kernelI19rocblas_complex_numIfEiPS3_EEvT0_S5_T1_S5_S5_llS6_S5_S5_ll
; %bb.0:
	s_load_dword s2, s[4:5], 0x54
	s_load_dwordx2 s[0:1], s[4:5], 0x0
	v_bfe_u32 v5, v0, 10, 10
	s_waitcnt lgkmcnt(0)
	s_lshr_b32 s2, s2, 16
	s_mul_i32 s7, s7, s2
	v_add_u32_e32 v1, s7, v5
	v_cmp_gt_i32_e32 vcc, s1, v1
	s_and_saveexec_b64 s[2:3], vcc
	s_cbranch_execz .LBB1_19
; %bb.1:
	s_load_dwordx8 s[12:19], s[4:5], 0x8
	s_load_dwordx8 s[20:27], s[4:5], 0x28
	s_ashr_i32 s1, s8, 31
	v_and_b32_e32 v10, 0x3ff, v0
	s_waitcnt lgkmcnt(0)
	s_mul_i32 s2, s8, s19
	s_mul_hi_u32 s3, s8, s18
	s_add_i32 s2, s3, s2
	s_mul_i32 s3, s1, s18
	s_add_i32 s3, s2, s3
	s_mul_i32 s2, s8, s18
	s_lshl_b64 s[2:3], s[2:3], 3
	s_add_u32 s4, s12, s2
	s_addc_u32 s5, s13, s3
	s_lshl_b64 s[2:3], s[16:17], 3
	s_add_u32 s4, s4, s2
	s_addc_u32 s5, s5, s3
	s_mul_i32 s2, s8, s27
	s_mul_hi_u32 s3, s8, s26
	s_add_i32 s2, s3, s2
	s_mul_i32 s1, s1, s26
	s_add_i32 s3, s2, s1
	s_mul_i32 s2, s8, s26
	s_lshl_b64 s[2:3], s[2:3], 3
	s_add_u32 s1, s20, s2
	s_addc_u32 s6, s21, s3
	s_lshl_b64 s[2:3], s[24:25], 3
	s_add_u32 s1, s1, s2
	v_mul_lo_u32 v0, v10, s22
	s_addc_u32 s6, s6, s3
	v_mad_u64_u32 v[0:1], s[2:3], v1, s23, v[0:1]
	v_ashrrev_i32_e32 v1, 31, v0
	v_lshlrev_b64 v[0:1], 3, v[0:1]
	v_mov_b32_e32 v2, s6
	v_add_co_u32_e32 v0, vcc, s1, v0
	v_addc_co_u32_e32 v1, vcc, v2, v1, vcc
	global_load_dwordx2 v[2:3], v[0:1], off
	s_add_i32 s6, s0, -1
	s_cmp_lt_i32 s0, 2
	s_cbranch_scc1 .LBB1_12
; %bb.2:
	s_add_i32 s0, s15, s14
	v_mul_lo_u32 v6, s0, v10
	v_ashrrev_i32_e32 v7, 31, v6
	v_lshlrev_b64 v[6:7], 3, v[6:7]
	v_mov_b32_e32 v8, s5
	v_add_co_u32_e32 v6, vcc, s4, v6
	v_mul_lo_u32 v4, v10, s14
	v_addc_co_u32_e32 v7, vcc, v8, v7, vcc
	s_mov_b32 s7, 0
	v_lshl_add_u32 v11, v5, 3, 0
	s_branch .LBB1_4
.LBB1_3:                                ;   in Loop: Header=BB1_4 Depth=1
	s_or_b64 exec, exec, s[0:1]
	s_add_i32 s7, s7, 1
	s_waitcnt vmcnt(0)
	v_pk_add_f32 v[2:3], v[2:3], v[8:9] neg_lo:[0,1] neg_hi:[0,1]
	s_cmp_eq_u32 s6, s7
	v_add_u32_e32 v4, s15, v4
	s_cbranch_scc1 .LBB1_12
.LBB1_4:                                ; =>This Inner Loop Header: Depth=1
	v_cmp_eq_u32_e32 vcc, s7, v10
	s_barrier
	s_and_saveexec_b64 s[0:1], vcc
	s_cbranch_execz .LBB1_10
; %bb.5:                                ;   in Loop: Header=BB1_4 Depth=1
	global_load_dwordx2 v[8:9], v[6:7], off
	s_waitcnt vmcnt(0)
	v_cmp_gt_f32_e32 vcc, 0, v8
	v_cndmask_b32_e64 v5, v8, -v8, vcc
	v_cmp_lt_f32_e32 vcc, 0, v9
	v_cndmask_b32_e64 v12, -v9, v9, vcc
	v_cmp_ngt_f32_e32 vcc, v5, v12
	s_and_saveexec_b64 s[2:3], vcc
	s_xor_b64 s[2:3], exec, s[2:3]
	s_cbranch_execz .LBB1_7
; %bb.6:                                ;   in Loop: Header=BB1_4 Depth=1
	v_div_scale_f32 v5, s[8:9], -v9, -v9, v8
	v_rcp_f32_e32 v12, v5
	v_div_scale_f32 v13, vcc, v8, -v9, v8
	v_fma_f32 v14, -v5, v12, 1.0
	v_fmac_f32_e32 v12, v14, v12
	v_mul_f32_e32 v14, v13, v12
	v_fma_f32 v15, -v5, v14, v13
	v_fmac_f32_e32 v14, v15, v12
	v_fma_f32 v5, -v5, v14, v13
	v_div_fmas_f32 v5, v5, v12, v14
	v_div_fixup_f32 v5, v5, -v9, v8
	v_fma_f32 v8, v8, v5, -v9
	v_div_scale_f32 v9, s[8:9], v8, v8, 1.0
	v_rcp_f32_e32 v12, v9
	v_fma_f32 v13, -v9, v12, 1.0
	v_fmac_f32_e32 v12, v13, v12
	v_div_scale_f32 v13, vcc, 1.0, v8, 1.0
	v_mul_f32_e32 v14, v13, v12
	v_fma_f32 v15, -v9, v14, v13
	v_fmac_f32_e32 v14, v15, v12
	v_fma_f32 v9, -v9, v14, v13
	v_div_fmas_f32 v9, v9, v12, v14
	v_div_fixup_f32 v9, v9, v8, 1.0
	v_fma_f32 v8, v2, v5, v3
	v_fma_f32 v3, v3, v5, -v2
	v_mov_b32_e32 v2, v9
	v_pk_mul_f32 v[2:3], v[8:9], v[2:3]
                                        ; implicit-def: $vgpr8_vgpr9
.LBB1_7:                                ;   in Loop: Header=BB1_4 Depth=1
	s_andn2_saveexec_b64 s[2:3], s[2:3]
	s_cbranch_execz .LBB1_9
; %bb.8:                                ;   in Loop: Header=BB1_4 Depth=1
	v_div_scale_f32 v5, s[8:9], v8, v8, -v9
	v_rcp_f32_e32 v12, v5
	v_div_scale_f32 v13, vcc, -v9, v8, -v9
	v_fma_f32 v14, -v5, v12, 1.0
	v_fmac_f32_e32 v12, v14, v12
	v_mul_f32_e32 v14, v13, v12
	v_fma_f32 v15, -v5, v14, v13
	v_fmac_f32_e32 v14, v15, v12
	v_fma_f32 v5, -v5, v14, v13
	v_div_fmas_f32 v5, v5, v12, v14
	v_div_fixup_f32 v12, v5, v8, -v9
	v_fma_f32 v5, -v9, v12, v8
	v_div_scale_f32 v8, s[8:9], v5, v5, 1.0
	v_rcp_f32_e32 v9, v8
	v_fma_f32 v13, -v8, v9, 1.0
	v_fmac_f32_e32 v9, v13, v9
	v_div_scale_f32 v13, vcc, 1.0, v5, 1.0
	v_mul_f32_e32 v14, v13, v9
	v_fma_f32 v15, -v8, v14, v13
	v_fmac_f32_e32 v14, v15, v9
	v_fma_f32 v8, -v8, v14, v13
	v_pk_mul_f32 v[12:13], v[2:3], v[12:13] op_sel_hi:[1,0]
	v_div_fmas_f32 v8, v8, v9, v14
	v_pk_add_f32 v[14:15], v[2:3], v[12:13] op_sel:[0,1] op_sel_hi:[1,0]
	v_pk_add_f32 v[2:3], v[2:3], v[12:13] op_sel:[0,1] op_sel_hi:[1,0] neg_lo:[0,1] neg_hi:[0,1]
	v_div_fixup_f32 v8, v8, v5, 1.0
	v_mov_b32_e32 v15, v3
	v_pk_mul_f32 v[2:3], v[14:15], v[8:9] op_sel_hi:[1,0]
.LBB1_9:                                ;   in Loop: Header=BB1_4 Depth=1
	s_or_b64 exec, exec, s[2:3]
	ds_write_b64 v11, v[2:3]
.LBB1_10:                               ;   in Loop: Header=BB1_4 Depth=1
	s_or_b64 exec, exec, s[0:1]
	v_mov_b32_e32 v8, 0
	v_cmp_lt_u32_e32 vcc, s7, v10
	v_mov_b32_e32 v9, v8
	s_waitcnt lgkmcnt(0)
	s_barrier
	s_and_saveexec_b64 s[0:1], vcc
	s_cbranch_execz .LBB1_3
; %bb.11:                               ;   in Loop: Header=BB1_4 Depth=1
	v_ashrrev_i32_e32 v5, 31, v4
	v_lshlrev_b64 v[8:9], 3, v[4:5]
	v_mov_b32_e32 v5, s5
	v_add_co_u32_e32 v8, vcc, s4, v8
	v_addc_co_u32_e32 v9, vcc, v5, v9, vcc
	global_load_dwordx2 v[8:9], v[8:9], off
	ds_read_b64 v[12:13], v11
	s_waitcnt vmcnt(0) lgkmcnt(0)
	v_pk_mul_f32 v[16:17], v[8:9], v[12:13] op_sel:[1,0]
	v_pk_mul_f32 v[14:15], v[8:9], v[12:13] op_sel_hi:[0,1]
	v_pk_fma_f32 v[8:9], v[8:9], v[12:13], v[16:17] op_sel:[0,0,1] op_sel_hi:[0,1,0] neg_lo:[0,0,1] neg_hi:[0,0,1]
	v_add_f32_e32 v8, v14, v17
	s_branch .LBB1_3
.LBB1_12:
	v_cmp_eq_u32_e32 vcc, s6, v10
	s_and_saveexec_b64 s[0:1], vcc
	s_cbranch_execz .LBB1_18
; %bb.13:
	s_add_i32 s2, s15, s14
	v_mul_lo_u32 v4, s2, v10
	v_ashrrev_i32_e32 v5, 31, v4
	v_lshlrev_b64 v[4:5], 3, v[4:5]
	v_mov_b32_e32 v6, s5
	v_add_co_u32_e32 v4, vcc, s4, v4
	v_addc_co_u32_e32 v5, vcc, v6, v5, vcc
	global_load_dwordx2 v[4:5], v[4:5], off
	s_waitcnt vmcnt(0)
	v_cmp_gt_f32_e32 vcc, 0, v4
	v_cndmask_b32_e64 v6, v4, -v4, vcc
	v_cmp_lt_f32_e32 vcc, 0, v5
	v_cndmask_b32_e64 v7, -v5, v5, vcc
	v_cmp_ngt_f32_e32 vcc, v6, v7
	s_and_saveexec_b64 s[2:3], vcc
	s_xor_b64 s[2:3], exec, s[2:3]
	s_cbranch_execz .LBB1_15
; %bb.14:
	v_div_scale_f32 v6, s[4:5], -v5, -v5, v4
	v_rcp_f32_e32 v7, v6
	v_div_scale_f32 v8, vcc, v4, -v5, v4
	v_fma_f32 v9, -v6, v7, 1.0
	v_fmac_f32_e32 v7, v9, v7
	v_mul_f32_e32 v9, v8, v7
	v_fma_f32 v10, -v6, v9, v8
	v_fmac_f32_e32 v9, v10, v7
	v_fma_f32 v6, -v6, v9, v8
	v_div_fmas_f32 v6, v6, v7, v9
	v_div_fixup_f32 v6, v6, -v5, v4
	v_fma_f32 v4, v4, v6, -v5
	v_div_scale_f32 v5, s[4:5], v4, v4, 1.0
	v_rcp_f32_e32 v7, v5
	v_fma_f32 v8, -v5, v7, 1.0
	v_fmac_f32_e32 v7, v8, v7
	v_div_scale_f32 v8, vcc, 1.0, v4, 1.0
	v_mul_f32_e32 v9, v8, v7
	v_fma_f32 v10, -v5, v9, v8
	v_fmac_f32_e32 v9, v10, v7
	v_fma_f32 v5, -v5, v9, v8
	v_div_fmas_f32 v5, v5, v7, v9
	v_div_fixup_f32 v5, v5, v4, 1.0
	v_fma_f32 v4, v2, v6, v3
	v_fma_f32 v3, v3, v6, -v2
	v_mov_b32_e32 v2, v5
	v_pk_mul_f32 v[2:3], v[4:5], v[2:3]
                                        ; implicit-def: $vgpr4_vgpr5
.LBB1_15:
	s_andn2_saveexec_b64 s[2:3], s[2:3]
	s_cbranch_execz .LBB1_17
; %bb.16:
	v_div_scale_f32 v6, s[4:5], v4, v4, -v5
	v_rcp_f32_e32 v7, v6
	v_div_scale_f32 v8, vcc, -v5, v4, -v5
	v_fma_f32 v9, -v6, v7, 1.0
	v_fmac_f32_e32 v7, v9, v7
	v_mul_f32_e32 v9, v8, v7
	v_fma_f32 v10, -v6, v9, v8
	v_fmac_f32_e32 v9, v10, v7
	v_fma_f32 v6, -v6, v9, v8
	v_div_fmas_f32 v6, v6, v7, v9
	v_div_fixup_f32 v6, v6, v4, -v5
	v_fma_f32 v4, -v5, v6, v4
	v_div_scale_f32 v5, s[4:5], v4, v4, 1.0
	v_rcp_f32_e32 v7, v5
	v_fma_f32 v8, -v5, v7, 1.0
	v_fmac_f32_e32 v7, v8, v7
	v_div_scale_f32 v8, vcc, 1.0, v4, 1.0
	v_mul_f32_e32 v9, v8, v7
	v_fma_f32 v10, -v5, v9, v8
	v_fmac_f32_e32 v9, v10, v7
	v_fma_f32 v5, -v5, v9, v8
	v_div_fmas_f32 v5, v5, v7, v9
	v_pk_mul_f32 v[6:7], v[2:3], v[6:7] op_sel_hi:[1,0]
	v_pk_add_f32 v[8:9], v[2:3], v[6:7] op_sel:[0,1] op_sel_hi:[1,0]
	v_pk_add_f32 v[2:3], v[2:3], v[6:7] op_sel:[0,1] op_sel_hi:[1,0] neg_lo:[0,1] neg_hi:[0,1]
	v_div_fixup_f32 v4, v5, v4, 1.0
	v_mov_b32_e32 v9, v3
	v_pk_mul_f32 v[2:3], v[8:9], v[4:5] op_sel_hi:[1,0]
.LBB1_17:
	s_or_b64 exec, exec, s[2:3]
.LBB1_18:
	s_or_b64 exec, exec, s[0:1]
	s_waitcnt vmcnt(0)
	global_store_dwordx2 v[0:1], v[2:3], off
.LBB1_19:
	s_endpgm
	.section	.rodata,"a",@progbits
	.p2align	6, 0x0
	.amdhsa_kernel _ZN9rocsolver6v33100L40conj_nonunit_forward_substitution_kernelI19rocblas_complex_numIfEiPS3_EEvT0_S5_T1_S5_S5_llS6_S5_S5_ll
		.amdhsa_group_segment_fixed_size 0
		.amdhsa_private_segment_fixed_size 0
		.amdhsa_kernarg_size 328
		.amdhsa_user_sgpr_count 6
		.amdhsa_user_sgpr_private_segment_buffer 1
		.amdhsa_user_sgpr_dispatch_ptr 0
		.amdhsa_user_sgpr_queue_ptr 0
		.amdhsa_user_sgpr_kernarg_segment_ptr 1
		.amdhsa_user_sgpr_dispatch_id 0
		.amdhsa_user_sgpr_flat_scratch_init 0
		.amdhsa_user_sgpr_kernarg_preload_length 0
		.amdhsa_user_sgpr_kernarg_preload_offset 0
		.amdhsa_user_sgpr_private_segment_size 0
		.amdhsa_uses_dynamic_stack 0
		.amdhsa_system_sgpr_private_segment_wavefront_offset 0
		.amdhsa_system_sgpr_workgroup_id_x 1
		.amdhsa_system_sgpr_workgroup_id_y 1
		.amdhsa_system_sgpr_workgroup_id_z 1
		.amdhsa_system_sgpr_workgroup_info 0
		.amdhsa_system_vgpr_workitem_id 1
		.amdhsa_next_free_vgpr 18
		.amdhsa_next_free_sgpr 28
		.amdhsa_accum_offset 20
		.amdhsa_reserve_vcc 1
		.amdhsa_reserve_flat_scratch 0
		.amdhsa_float_round_mode_32 0
		.amdhsa_float_round_mode_16_64 0
		.amdhsa_float_denorm_mode_32 3
		.amdhsa_float_denorm_mode_16_64 3
		.amdhsa_dx10_clamp 1
		.amdhsa_ieee_mode 1
		.amdhsa_fp16_overflow 0
		.amdhsa_tg_split 0
		.amdhsa_exception_fp_ieee_invalid_op 0
		.amdhsa_exception_fp_denorm_src 0
		.amdhsa_exception_fp_ieee_div_zero 0
		.amdhsa_exception_fp_ieee_overflow 0
		.amdhsa_exception_fp_ieee_underflow 0
		.amdhsa_exception_fp_ieee_inexact 0
		.amdhsa_exception_int_div_zero 0
	.end_amdhsa_kernel
	.section	.text._ZN9rocsolver6v33100L40conj_nonunit_forward_substitution_kernelI19rocblas_complex_numIfEiPS3_EEvT0_S5_T1_S5_S5_llS6_S5_S5_ll,"axG",@progbits,_ZN9rocsolver6v33100L40conj_nonunit_forward_substitution_kernelI19rocblas_complex_numIfEiPS3_EEvT0_S5_T1_S5_S5_llS6_S5_S5_ll,comdat
.Lfunc_end1:
	.size	_ZN9rocsolver6v33100L40conj_nonunit_forward_substitution_kernelI19rocblas_complex_numIfEiPS3_EEvT0_S5_T1_S5_S5_llS6_S5_S5_ll, .Lfunc_end1-_ZN9rocsolver6v33100L40conj_nonunit_forward_substitution_kernelI19rocblas_complex_numIfEiPS3_EEvT0_S5_T1_S5_S5_llS6_S5_S5_ll
                                        ; -- End function
	.section	.AMDGPU.csdata,"",@progbits
; Kernel info:
; codeLenInByte = 1396
; NumSgprs: 32
; NumVgprs: 18
; NumAgprs: 0
; TotalNumVgprs: 18
; ScratchSize: 0
; MemoryBound: 0
; FloatMode: 240
; IeeeMode: 1
; LDSByteSize: 0 bytes/workgroup (compile time only)
; SGPRBlocks: 3
; VGPRBlocks: 2
; NumSGPRsForWavesPerEU: 32
; NumVGPRsForWavesPerEU: 18
; AccumOffset: 20
; Occupancy: 8
; WaveLimiterHint : 0
; COMPUTE_PGM_RSRC2:SCRATCH_EN: 0
; COMPUTE_PGM_RSRC2:USER_SGPR: 6
; COMPUTE_PGM_RSRC2:TRAP_HANDLER: 0
; COMPUTE_PGM_RSRC2:TGID_X_EN: 1
; COMPUTE_PGM_RSRC2:TGID_Y_EN: 1
; COMPUTE_PGM_RSRC2:TGID_Z_EN: 1
; COMPUTE_PGM_RSRC2:TIDIG_COMP_CNT: 1
; COMPUTE_PGM_RSRC3_GFX90A:ACCUM_OFFSET: 4
; COMPUTE_PGM_RSRC3_GFX90A:TG_SPLIT: 0
	.section	.text._ZN9rocsolver6v33100L32unit_forward_substitution_kernelI19rocblas_complex_numIfEiPS3_EEvT0_S5_T1_S5_S5_llS6_S5_S5_ll,"axG",@progbits,_ZN9rocsolver6v33100L32unit_forward_substitution_kernelI19rocblas_complex_numIfEiPS3_EEvT0_S5_T1_S5_S5_llS6_S5_S5_ll,comdat
	.globl	_ZN9rocsolver6v33100L32unit_forward_substitution_kernelI19rocblas_complex_numIfEiPS3_EEvT0_S5_T1_S5_S5_llS6_S5_S5_ll ; -- Begin function _ZN9rocsolver6v33100L32unit_forward_substitution_kernelI19rocblas_complex_numIfEiPS3_EEvT0_S5_T1_S5_S5_llS6_S5_S5_ll
	.p2align	8
	.type	_ZN9rocsolver6v33100L32unit_forward_substitution_kernelI19rocblas_complex_numIfEiPS3_EEvT0_S5_T1_S5_S5_llS6_S5_S5_ll,@function
_ZN9rocsolver6v33100L32unit_forward_substitution_kernelI19rocblas_complex_numIfEiPS3_EEvT0_S5_T1_S5_S5_llS6_S5_S5_ll: ; @_ZN9rocsolver6v33100L32unit_forward_substitution_kernelI19rocblas_complex_numIfEiPS3_EEvT0_S5_T1_S5_S5_llS6_S5_S5_ll
; %bb.0:
	s_load_dword s0, s[4:5], 0x54
	s_load_dwordx2 s[10:11], s[4:5], 0x0
	v_bfe_u32 v5, v0, 10, 10
	s_waitcnt lgkmcnt(0)
	s_lshr_b32 s0, s0, 16
	s_mul_i32 s7, s7, s0
	v_add_u32_e32 v1, s7, v5
	v_cmp_gt_i32_e32 vcc, s11, v1
	s_and_saveexec_b64 s[0:1], vcc
	s_cbranch_execz .LBB2_9
; %bb.1:
	s_load_dwordx8 s[12:19], s[4:5], 0x28
	s_ashr_i32 s9, s8, 31
	v_and_b32_e32 v8, 0x3ff, v0
	s_waitcnt lgkmcnt(0)
	s_mul_i32 s0, s8, s19
	s_mul_hi_u32 s1, s8, s18
	s_mul_i32 s2, s9, s18
	s_add_i32 s0, s1, s0
	s_add_i32 s1, s0, s2
	s_mul_i32 s0, s8, s18
	s_lshl_b64 s[0:1], s[0:1], 3
	s_add_u32 s2, s12, s0
	s_addc_u32 s3, s13, s1
	s_lshl_b64 s[0:1], s[16:17], 3
	s_add_u32 s2, s2, s0
	v_mul_lo_u32 v0, v8, s14
	s_addc_u32 s3, s3, s1
	v_mad_u64_u32 v[0:1], s[0:1], v1, s15, v[0:1]
	v_ashrrev_i32_e32 v1, 31, v0
	v_lshlrev_b64 v[0:1], 3, v[0:1]
	v_mov_b32_e32 v2, s3
	v_add_co_u32_e32 v0, vcc, s2, v0
	v_addc_co_u32_e32 v1, vcc, v2, v1, vcc
	global_load_dwordx2 v[2:3], v[0:1], off
	s_cmp_lt_i32 s10, 2
	s_cbranch_scc1 .LBB2_8
; %bb.2:
	s_load_dwordx8 s[0:7], s[4:5], 0x8
	v_lshl_add_u32 v9, v5, 3, 0
	s_waitcnt lgkmcnt(0)
	v_mul_lo_u32 v4, v8, s2
	s_mul_i32 s2, s8, s7
	s_mul_hi_u32 s7, s8, s6
	s_mul_i32 s9, s9, s6
	s_add_i32 s2, s7, s2
	s_mul_i32 s6, s8, s6
	s_add_i32 s7, s2, s9
	s_lshl_b64 s[6:7], s[6:7], 3
	s_add_u32 s2, s0, s6
	s_addc_u32 s6, s1, s7
	s_lshl_b64 s[0:1], s[4:5], 3
	s_add_u32 s2, s2, s0
	s_addc_u32 s4, s6, s1
	s_mov_b32 s5, 0
	s_add_i32 s6, s10, -1
	s_branch .LBB2_4
.LBB2_3:                                ;   in Loop: Header=BB2_4 Depth=1
	s_or_b64 exec, exec, s[0:1]
	s_add_i32 s5, s5, 1
	s_waitcnt vmcnt(0)
	v_pk_add_f32 v[2:3], v[2:3], v[6:7] neg_lo:[0,1] neg_hi:[0,1]
	s_cmp_eq_u32 s6, s5
	v_add_u32_e32 v4, s3, v4
	s_cbranch_scc1 .LBB2_8
.LBB2_4:                                ; =>This Inner Loop Header: Depth=1
	v_cmp_eq_u32_e32 vcc, s5, v8
	s_barrier
	s_and_saveexec_b64 s[0:1], vcc
	s_cbranch_execz .LBB2_6
; %bb.5:                                ;   in Loop: Header=BB2_4 Depth=1
	s_waitcnt vmcnt(0)
	ds_write_b64 v9, v[2:3]
.LBB2_6:                                ;   in Loop: Header=BB2_4 Depth=1
	s_or_b64 exec, exec, s[0:1]
	v_cmp_lt_u32_e32 vcc, s5, v8
	v_mov_b32_e32 v6, 0
	v_mov_b32_e32 v7, 0
	s_waitcnt lgkmcnt(0)
	s_barrier
	s_and_saveexec_b64 s[0:1], vcc
	s_cbranch_execz .LBB2_3
; %bb.7:                                ;   in Loop: Header=BB2_4 Depth=1
	v_ashrrev_i32_e32 v5, 31, v4
	v_lshlrev_b64 v[6:7], 3, v[4:5]
	v_mov_b32_e32 v5, s4
	v_add_co_u32_e32 v6, vcc, s2, v6
	v_addc_co_u32_e32 v7, vcc, v5, v7, vcc
	global_load_dwordx2 v[6:7], v[6:7], off
	ds_read_b64 v[10:11], v9
	s_waitcnt vmcnt(0) lgkmcnt(0)
	v_pk_mul_f32 v[12:13], v[10:11], v[6:7] op_sel:[0,1]
	v_pk_mul_f32 v[14:15], v[10:11], v[6:7] op_sel_hi:[1,0]
	v_pk_fma_f32 v[6:7], v[10:11], v[6:7], v[12:13] op_sel:[0,0,1] op_sel_hi:[1,0,0]
	v_sub_f32_e32 v6, v14, v13
	s_branch .LBB2_3
.LBB2_8:
	s_waitcnt vmcnt(0)
	global_store_dwordx2 v[0:1], v[2:3], off
.LBB2_9:
	s_endpgm
	.section	.rodata,"a",@progbits
	.p2align	6, 0x0
	.amdhsa_kernel _ZN9rocsolver6v33100L32unit_forward_substitution_kernelI19rocblas_complex_numIfEiPS3_EEvT0_S5_T1_S5_S5_llS6_S5_S5_ll
		.amdhsa_group_segment_fixed_size 0
		.amdhsa_private_segment_fixed_size 0
		.amdhsa_kernarg_size 328
		.amdhsa_user_sgpr_count 6
		.amdhsa_user_sgpr_private_segment_buffer 1
		.amdhsa_user_sgpr_dispatch_ptr 0
		.amdhsa_user_sgpr_queue_ptr 0
		.amdhsa_user_sgpr_kernarg_segment_ptr 1
		.amdhsa_user_sgpr_dispatch_id 0
		.amdhsa_user_sgpr_flat_scratch_init 0
		.amdhsa_user_sgpr_kernarg_preload_length 0
		.amdhsa_user_sgpr_kernarg_preload_offset 0
		.amdhsa_user_sgpr_private_segment_size 0
		.amdhsa_uses_dynamic_stack 0
		.amdhsa_system_sgpr_private_segment_wavefront_offset 0
		.amdhsa_system_sgpr_workgroup_id_x 1
		.amdhsa_system_sgpr_workgroup_id_y 1
		.amdhsa_system_sgpr_workgroup_id_z 1
		.amdhsa_system_sgpr_workgroup_info 0
		.amdhsa_system_vgpr_workitem_id 1
		.amdhsa_next_free_vgpr 16
		.amdhsa_next_free_sgpr 20
		.amdhsa_accum_offset 16
		.amdhsa_reserve_vcc 1
		.amdhsa_reserve_flat_scratch 0
		.amdhsa_float_round_mode_32 0
		.amdhsa_float_round_mode_16_64 0
		.amdhsa_float_denorm_mode_32 3
		.amdhsa_float_denorm_mode_16_64 3
		.amdhsa_dx10_clamp 1
		.amdhsa_ieee_mode 1
		.amdhsa_fp16_overflow 0
		.amdhsa_tg_split 0
		.amdhsa_exception_fp_ieee_invalid_op 0
		.amdhsa_exception_fp_denorm_src 0
		.amdhsa_exception_fp_ieee_div_zero 0
		.amdhsa_exception_fp_ieee_overflow 0
		.amdhsa_exception_fp_ieee_underflow 0
		.amdhsa_exception_fp_ieee_inexact 0
		.amdhsa_exception_int_div_zero 0
	.end_amdhsa_kernel
	.section	.text._ZN9rocsolver6v33100L32unit_forward_substitution_kernelI19rocblas_complex_numIfEiPS3_EEvT0_S5_T1_S5_S5_llS6_S5_S5_ll,"axG",@progbits,_ZN9rocsolver6v33100L32unit_forward_substitution_kernelI19rocblas_complex_numIfEiPS3_EEvT0_S5_T1_S5_S5_llS6_S5_S5_ll,comdat
.Lfunc_end2:
	.size	_ZN9rocsolver6v33100L32unit_forward_substitution_kernelI19rocblas_complex_numIfEiPS3_EEvT0_S5_T1_S5_S5_llS6_S5_S5_ll, .Lfunc_end2-_ZN9rocsolver6v33100L32unit_forward_substitution_kernelI19rocblas_complex_numIfEiPS3_EEvT0_S5_T1_S5_S5_llS6_S5_S5_ll
                                        ; -- End function
	.section	.AMDGPU.csdata,"",@progbits
; Kernel info:
; codeLenInByte = 452
; NumSgprs: 24
; NumVgprs: 16
; NumAgprs: 0
; TotalNumVgprs: 16
; ScratchSize: 0
; MemoryBound: 0
; FloatMode: 240
; IeeeMode: 1
; LDSByteSize: 0 bytes/workgroup (compile time only)
; SGPRBlocks: 2
; VGPRBlocks: 1
; NumSGPRsForWavesPerEU: 24
; NumVGPRsForWavesPerEU: 16
; AccumOffset: 16
; Occupancy: 8
; WaveLimiterHint : 0
; COMPUTE_PGM_RSRC2:SCRATCH_EN: 0
; COMPUTE_PGM_RSRC2:USER_SGPR: 6
; COMPUTE_PGM_RSRC2:TRAP_HANDLER: 0
; COMPUTE_PGM_RSRC2:TGID_X_EN: 1
; COMPUTE_PGM_RSRC2:TGID_Y_EN: 1
; COMPUTE_PGM_RSRC2:TGID_Z_EN: 1
; COMPUTE_PGM_RSRC2:TIDIG_COMP_CNT: 1
; COMPUTE_PGM_RSRC3_GFX90A:ACCUM_OFFSET: 3
; COMPUTE_PGM_RSRC3_GFX90A:TG_SPLIT: 0
	.section	.text._ZN9rocsolver6v33100L35nonunit_forward_substitution_kernelI19rocblas_complex_numIfEiPS3_EEvT0_S5_T1_S5_S5_llS6_S5_S5_ll,"axG",@progbits,_ZN9rocsolver6v33100L35nonunit_forward_substitution_kernelI19rocblas_complex_numIfEiPS3_EEvT0_S5_T1_S5_S5_llS6_S5_S5_ll,comdat
	.globl	_ZN9rocsolver6v33100L35nonunit_forward_substitution_kernelI19rocblas_complex_numIfEiPS3_EEvT0_S5_T1_S5_S5_llS6_S5_S5_ll ; -- Begin function _ZN9rocsolver6v33100L35nonunit_forward_substitution_kernelI19rocblas_complex_numIfEiPS3_EEvT0_S5_T1_S5_S5_llS6_S5_S5_ll
	.p2align	8
	.type	_ZN9rocsolver6v33100L35nonunit_forward_substitution_kernelI19rocblas_complex_numIfEiPS3_EEvT0_S5_T1_S5_S5_llS6_S5_S5_ll,@function
_ZN9rocsolver6v33100L35nonunit_forward_substitution_kernelI19rocblas_complex_numIfEiPS3_EEvT0_S5_T1_S5_S5_llS6_S5_S5_ll: ; @_ZN9rocsolver6v33100L35nonunit_forward_substitution_kernelI19rocblas_complex_numIfEiPS3_EEvT0_S5_T1_S5_S5_llS6_S5_S5_ll
; %bb.0:
	s_load_dword s2, s[4:5], 0x54
	s_load_dwordx2 s[0:1], s[4:5], 0x0
	v_bfe_u32 v5, v0, 10, 10
	s_waitcnt lgkmcnt(0)
	s_lshr_b32 s2, s2, 16
	s_mul_i32 s7, s7, s2
	v_add_u32_e32 v1, s7, v5
	v_cmp_gt_i32_e32 vcc, s1, v1
	s_and_saveexec_b64 s[2:3], vcc
	s_cbranch_execz .LBB3_19
; %bb.1:
	s_load_dwordx8 s[12:19], s[4:5], 0x8
	s_load_dwordx8 s[20:27], s[4:5], 0x28
	s_ashr_i32 s1, s8, 31
	v_and_b32_e32 v10, 0x3ff, v0
	s_waitcnt lgkmcnt(0)
	s_mul_i32 s2, s8, s19
	s_mul_hi_u32 s3, s8, s18
	s_add_i32 s2, s3, s2
	s_mul_i32 s3, s1, s18
	s_add_i32 s3, s2, s3
	s_mul_i32 s2, s8, s18
	s_lshl_b64 s[2:3], s[2:3], 3
	s_add_u32 s4, s12, s2
	s_addc_u32 s5, s13, s3
	s_lshl_b64 s[2:3], s[16:17], 3
	s_add_u32 s4, s4, s2
	s_addc_u32 s5, s5, s3
	s_mul_i32 s2, s8, s27
	s_mul_hi_u32 s3, s8, s26
	s_add_i32 s2, s3, s2
	s_mul_i32 s1, s1, s26
	s_add_i32 s3, s2, s1
	s_mul_i32 s2, s8, s26
	s_lshl_b64 s[2:3], s[2:3], 3
	s_add_u32 s1, s20, s2
	s_addc_u32 s6, s21, s3
	s_lshl_b64 s[2:3], s[24:25], 3
	s_add_u32 s1, s1, s2
	v_mul_lo_u32 v0, v10, s22
	s_addc_u32 s6, s6, s3
	v_mad_u64_u32 v[0:1], s[2:3], v1, s23, v[0:1]
	v_ashrrev_i32_e32 v1, 31, v0
	v_lshlrev_b64 v[0:1], 3, v[0:1]
	v_mov_b32_e32 v2, s6
	v_add_co_u32_e32 v0, vcc, s1, v0
	v_addc_co_u32_e32 v1, vcc, v2, v1, vcc
	global_load_dwordx2 v[2:3], v[0:1], off
	s_add_i32 s6, s0, -1
	s_cmp_lt_i32 s0, 2
	s_cbranch_scc1 .LBB3_12
; %bb.2:
	s_add_i32 s0, s15, s14
	v_mul_lo_u32 v6, s0, v10
	v_ashrrev_i32_e32 v7, 31, v6
	v_lshlrev_b64 v[6:7], 3, v[6:7]
	v_mov_b32_e32 v8, s5
	v_add_co_u32_e32 v6, vcc, s4, v6
	v_mul_lo_u32 v4, v10, s14
	v_addc_co_u32_e32 v7, vcc, v8, v7, vcc
	s_mov_b32 s7, 0
	v_lshl_add_u32 v11, v5, 3, 0
	s_branch .LBB3_4
.LBB3_3:                                ;   in Loop: Header=BB3_4 Depth=1
	s_or_b64 exec, exec, s[0:1]
	s_add_i32 s7, s7, 1
	s_waitcnt vmcnt(0)
	v_pk_add_f32 v[2:3], v[2:3], v[8:9] neg_lo:[0,1] neg_hi:[0,1]
	s_cmp_eq_u32 s6, s7
	v_add_u32_e32 v4, s15, v4
	s_cbranch_scc1 .LBB3_12
.LBB3_4:                                ; =>This Inner Loop Header: Depth=1
	v_cmp_eq_u32_e32 vcc, s7, v10
	s_barrier
	s_and_saveexec_b64 s[0:1], vcc
	s_cbranch_execz .LBB3_10
; %bb.5:                                ;   in Loop: Header=BB3_4 Depth=1
	global_load_dwordx2 v[8:9], v[6:7], off
	s_waitcnt vmcnt(0)
	v_cmp_gt_f32_e32 vcc, 0, v9
	v_cndmask_b32_e64 v5, v9, -v9, vcc
	v_cmp_gt_f32_e32 vcc, 0, v8
	v_cndmask_b32_e64 v12, v8, -v8, vcc
	v_cmp_ngt_f32_e32 vcc, v12, v5
	s_and_saveexec_b64 s[2:3], vcc
	s_xor_b64 s[2:3], exec, s[2:3]
	s_cbranch_execz .LBB3_7
; %bb.6:                                ;   in Loop: Header=BB3_4 Depth=1
	v_div_scale_f32 v5, s[8:9], v9, v9, v8
	v_rcp_f32_e32 v12, v5
	v_div_scale_f32 v13, vcc, v8, v9, v8
	v_fma_f32 v14, -v5, v12, 1.0
	v_fmac_f32_e32 v12, v14, v12
	v_mul_f32_e32 v14, v13, v12
	v_fma_f32 v15, -v5, v14, v13
	v_fmac_f32_e32 v14, v15, v12
	v_fma_f32 v5, -v5, v14, v13
	v_div_fmas_f32 v5, v5, v12, v14
	v_div_fixup_f32 v12, v5, v9, v8
	v_fmac_f32_e32 v9, v8, v12
	v_div_scale_f32 v5, s[8:9], v9, v9, 1.0
	v_rcp_f32_e32 v8, v5
	v_fma_f32 v13, -v5, v8, 1.0
	v_fmac_f32_e32 v8, v13, v8
	v_div_scale_f32 v13, vcc, 1.0, v9, 1.0
	v_mul_f32_e32 v14, v13, v8
	v_fma_f32 v15, -v5, v14, v13
	v_fmac_f32_e32 v14, v15, v8
	v_fma_f32 v5, -v5, v14, v13
	v_div_fmas_f32 v5, v5, v8, v14
	v_pk_fma_f32 v[14:15], v[2:3], v[12:13], v[2:3] op_sel:[0,0,1] op_sel_hi:[1,0,0] neg_lo:[0,0,1] neg_hi:[0,0,1]
	v_pk_fma_f32 v[2:3], v[2:3], v[12:13], v[2:3] op_sel:[0,0,1] op_sel_hi:[1,0,0]
	v_div_fixup_f32 v8, v5, v9, 1.0
	v_mov_b32_e32 v3, v15
	v_pk_mul_f32 v[2:3], v[2:3], v[8:9] op_sel_hi:[1,0]
                                        ; implicit-def: $vgpr8_vgpr9
.LBB3_7:                                ;   in Loop: Header=BB3_4 Depth=1
	s_andn2_saveexec_b64 s[2:3], s[2:3]
	s_cbranch_execz .LBB3_9
; %bb.8:                                ;   in Loop: Header=BB3_4 Depth=1
	v_div_scale_f32 v5, s[8:9], v8, v8, v9
	v_rcp_f32_e32 v12, v5
	v_div_scale_f32 v13, vcc, v9, v8, v9
	v_fma_f32 v14, -v5, v12, 1.0
	v_fmac_f32_e32 v12, v14, v12
	v_mul_f32_e32 v14, v13, v12
	v_fma_f32 v15, -v5, v14, v13
	v_fmac_f32_e32 v14, v15, v12
	v_fma_f32 v5, -v5, v14, v13
	v_div_fmas_f32 v5, v5, v12, v14
	v_div_fixup_f32 v12, v5, v8, v9
	v_fmac_f32_e32 v8, v9, v12
	v_div_scale_f32 v5, s[8:9], v8, v8, 1.0
	v_rcp_f32_e32 v9, v5
	v_fma_f32 v13, -v5, v9, 1.0
	v_fmac_f32_e32 v9, v13, v9
	v_div_scale_f32 v13, vcc, 1.0, v8, 1.0
	v_mul_f32_e32 v14, v13, v9
	v_fma_f32 v15, -v5, v14, v13
	v_fmac_f32_e32 v14, v15, v9
	v_fma_f32 v5, -v5, v14, v13
	v_pk_mul_f32 v[12:13], v[2:3], v[12:13] op_sel_hi:[1,0]
	v_div_fmas_f32 v5, v5, v9, v14
	v_pk_add_f32 v[14:15], v[2:3], v[12:13] op_sel:[0,1] op_sel_hi:[1,0] neg_lo:[0,1] neg_hi:[0,1]
	v_pk_add_f32 v[2:3], v[2:3], v[12:13] op_sel:[0,1] op_sel_hi:[1,0]
	v_div_fixup_f32 v8, v5, v8, 1.0
	v_mov_b32_e32 v3, v15
	v_pk_mul_f32 v[2:3], v[2:3], v[8:9] op_sel_hi:[1,0]
.LBB3_9:                                ;   in Loop: Header=BB3_4 Depth=1
	s_or_b64 exec, exec, s[2:3]
	ds_write_b64 v11, v[2:3]
.LBB3_10:                               ;   in Loop: Header=BB3_4 Depth=1
	s_or_b64 exec, exec, s[0:1]
	v_mov_b32_e32 v8, 0
	v_cmp_lt_u32_e32 vcc, s7, v10
	v_mov_b32_e32 v9, v8
	s_waitcnt lgkmcnt(0)
	s_barrier
	s_and_saveexec_b64 s[0:1], vcc
	s_cbranch_execz .LBB3_3
; %bb.11:                               ;   in Loop: Header=BB3_4 Depth=1
	v_ashrrev_i32_e32 v5, 31, v4
	v_lshlrev_b64 v[8:9], 3, v[4:5]
	v_mov_b32_e32 v5, s5
	v_add_co_u32_e32 v8, vcc, s4, v8
	v_addc_co_u32_e32 v9, vcc, v5, v9, vcc
	global_load_dwordx2 v[8:9], v[8:9], off
	ds_read_b64 v[12:13], v11
	s_waitcnt vmcnt(0) lgkmcnt(0)
	v_pk_mul_f32 v[14:15], v[12:13], v[8:9] op_sel:[0,1]
	v_pk_mul_f32 v[16:17], v[12:13], v[8:9] op_sel_hi:[1,0]
	v_pk_fma_f32 v[8:9], v[12:13], v[8:9], v[14:15] op_sel:[0,0,1] op_sel_hi:[1,0,0]
	v_sub_f32_e32 v8, v16, v15
	s_branch .LBB3_3
.LBB3_12:
	v_cmp_eq_u32_e32 vcc, s6, v10
	s_and_saveexec_b64 s[0:1], vcc
	s_cbranch_execz .LBB3_18
; %bb.13:
	s_add_i32 s2, s15, s14
	v_mul_lo_u32 v4, s2, v10
	v_ashrrev_i32_e32 v5, 31, v4
	v_lshlrev_b64 v[4:5], 3, v[4:5]
	v_mov_b32_e32 v6, s5
	v_add_co_u32_e32 v4, vcc, s4, v4
	v_addc_co_u32_e32 v5, vcc, v6, v5, vcc
	global_load_dwordx2 v[4:5], v[4:5], off
	s_waitcnt vmcnt(0)
	v_cmp_gt_f32_e32 vcc, 0, v5
	v_cndmask_b32_e64 v6, v5, -v5, vcc
	v_cmp_gt_f32_e32 vcc, 0, v4
	v_cndmask_b32_e64 v7, v4, -v4, vcc
	v_cmp_ngt_f32_e32 vcc, v7, v6
	s_and_saveexec_b64 s[2:3], vcc
	s_xor_b64 s[2:3], exec, s[2:3]
	s_cbranch_execz .LBB3_15
; %bb.14:
	v_div_scale_f32 v6, s[4:5], v5, v5, v4
	v_rcp_f32_e32 v7, v6
	v_div_scale_f32 v8, vcc, v4, v5, v4
	v_fma_f32 v9, -v6, v7, 1.0
	v_fmac_f32_e32 v7, v9, v7
	v_mul_f32_e32 v9, v8, v7
	v_fma_f32 v10, -v6, v9, v8
	v_fmac_f32_e32 v9, v10, v7
	v_fma_f32 v6, -v6, v9, v8
	v_div_fmas_f32 v6, v6, v7, v9
	v_div_fixup_f32 v6, v6, v5, v4
	v_fmac_f32_e32 v5, v4, v6
	v_div_scale_f32 v4, s[4:5], v5, v5, 1.0
	v_rcp_f32_e32 v7, v4
	v_fma_f32 v8, -v4, v7, 1.0
	v_fmac_f32_e32 v7, v8, v7
	v_div_scale_f32 v8, vcc, 1.0, v5, 1.0
	v_mul_f32_e32 v9, v8, v7
	v_fma_f32 v10, -v4, v9, v8
	v_fmac_f32_e32 v9, v10, v7
	v_fma_f32 v4, -v4, v9, v8
	v_div_fmas_f32 v4, v4, v7, v9
	v_div_fixup_f32 v4, v4, v5, 1.0
	v_fma_f32 v5, v2, v6, v3
	v_mul_f32_e32 v5, v5, v4
	v_fma_f32 v2, v3, v6, -v2
	v_mul_f32_e32 v3, v2, v4
	v_mov_b32_e32 v2, v5
                                        ; implicit-def: $vgpr4_vgpr5
.LBB3_15:
	s_andn2_saveexec_b64 s[2:3], s[2:3]
	s_cbranch_execz .LBB3_17
; %bb.16:
	v_div_scale_f32 v6, s[4:5], v4, v4, v5
	v_rcp_f32_e32 v7, v6
	v_div_scale_f32 v8, vcc, v5, v4, v5
	v_fma_f32 v9, -v6, v7, 1.0
	v_fmac_f32_e32 v7, v9, v7
	v_mul_f32_e32 v9, v8, v7
	v_fma_f32 v10, -v6, v9, v8
	v_fmac_f32_e32 v9, v10, v7
	v_fma_f32 v6, -v6, v9, v8
	v_div_fmas_f32 v6, v6, v7, v9
	v_div_fixup_f32 v6, v6, v4, v5
	v_fmac_f32_e32 v4, v5, v6
	v_div_scale_f32 v5, s[4:5], v4, v4, 1.0
	v_rcp_f32_e32 v7, v5
	v_fma_f32 v8, -v5, v7, 1.0
	v_fmac_f32_e32 v7, v8, v7
	v_div_scale_f32 v8, vcc, 1.0, v4, 1.0
	v_mul_f32_e32 v9, v8, v7
	v_fma_f32 v10, -v5, v9, v8
	v_fmac_f32_e32 v9, v10, v7
	v_fma_f32 v5, -v5, v9, v8
	v_div_fmas_f32 v5, v5, v7, v9
	v_div_fixup_f32 v4, v5, v4, 1.0
	v_fma_f32 v5, v3, v6, v2
	v_mul_f32_e32 v5, v5, v4
	v_fma_f32 v2, -v2, v6, v3
	v_mul_f32_e32 v3, v2, v4
	v_mov_b32_e32 v2, v5
.LBB3_17:
	s_or_b64 exec, exec, s[2:3]
.LBB3_18:
	s_or_b64 exec, exec, s[0:1]
	s_waitcnt vmcnt(0)
	global_store_dwordx2 v[0:1], v[2:3], off
.LBB3_19:
	s_endpgm
	.section	.rodata,"a",@progbits
	.p2align	6, 0x0
	.amdhsa_kernel _ZN9rocsolver6v33100L35nonunit_forward_substitution_kernelI19rocblas_complex_numIfEiPS3_EEvT0_S5_T1_S5_S5_llS6_S5_S5_ll
		.amdhsa_group_segment_fixed_size 0
		.amdhsa_private_segment_fixed_size 0
		.amdhsa_kernarg_size 328
		.amdhsa_user_sgpr_count 6
		.amdhsa_user_sgpr_private_segment_buffer 1
		.amdhsa_user_sgpr_dispatch_ptr 0
		.amdhsa_user_sgpr_queue_ptr 0
		.amdhsa_user_sgpr_kernarg_segment_ptr 1
		.amdhsa_user_sgpr_dispatch_id 0
		.amdhsa_user_sgpr_flat_scratch_init 0
		.amdhsa_user_sgpr_kernarg_preload_length 0
		.amdhsa_user_sgpr_kernarg_preload_offset 0
		.amdhsa_user_sgpr_private_segment_size 0
		.amdhsa_uses_dynamic_stack 0
		.amdhsa_system_sgpr_private_segment_wavefront_offset 0
		.amdhsa_system_sgpr_workgroup_id_x 1
		.amdhsa_system_sgpr_workgroup_id_y 1
		.amdhsa_system_sgpr_workgroup_id_z 1
		.amdhsa_system_sgpr_workgroup_info 0
		.amdhsa_system_vgpr_workitem_id 1
		.amdhsa_next_free_vgpr 18
		.amdhsa_next_free_sgpr 28
		.amdhsa_accum_offset 20
		.amdhsa_reserve_vcc 1
		.amdhsa_reserve_flat_scratch 0
		.amdhsa_float_round_mode_32 0
		.amdhsa_float_round_mode_16_64 0
		.amdhsa_float_denorm_mode_32 3
		.amdhsa_float_denorm_mode_16_64 3
		.amdhsa_dx10_clamp 1
		.amdhsa_ieee_mode 1
		.amdhsa_fp16_overflow 0
		.amdhsa_tg_split 0
		.amdhsa_exception_fp_ieee_invalid_op 0
		.amdhsa_exception_fp_denorm_src 0
		.amdhsa_exception_fp_ieee_div_zero 0
		.amdhsa_exception_fp_ieee_overflow 0
		.amdhsa_exception_fp_ieee_underflow 0
		.amdhsa_exception_fp_ieee_inexact 0
		.amdhsa_exception_int_div_zero 0
	.end_amdhsa_kernel
	.section	.text._ZN9rocsolver6v33100L35nonunit_forward_substitution_kernelI19rocblas_complex_numIfEiPS3_EEvT0_S5_T1_S5_S5_llS6_S5_S5_ll,"axG",@progbits,_ZN9rocsolver6v33100L35nonunit_forward_substitution_kernelI19rocblas_complex_numIfEiPS3_EEvT0_S5_T1_S5_S5_llS6_S5_S5_ll,comdat
.Lfunc_end3:
	.size	_ZN9rocsolver6v33100L35nonunit_forward_substitution_kernelI19rocblas_complex_numIfEiPS3_EEvT0_S5_T1_S5_S5_llS6_S5_S5_ll, .Lfunc_end3-_ZN9rocsolver6v33100L35nonunit_forward_substitution_kernelI19rocblas_complex_numIfEiPS3_EEvT0_S5_T1_S5_S5_llS6_S5_S5_ll
                                        ; -- End function
	.section	.AMDGPU.csdata,"",@progbits
; Kernel info:
; codeLenInByte = 1372
; NumSgprs: 32
; NumVgprs: 18
; NumAgprs: 0
; TotalNumVgprs: 18
; ScratchSize: 0
; MemoryBound: 0
; FloatMode: 240
; IeeeMode: 1
; LDSByteSize: 0 bytes/workgroup (compile time only)
; SGPRBlocks: 3
; VGPRBlocks: 2
; NumSGPRsForWavesPerEU: 32
; NumVGPRsForWavesPerEU: 18
; AccumOffset: 20
; Occupancy: 8
; WaveLimiterHint : 0
; COMPUTE_PGM_RSRC2:SCRATCH_EN: 0
; COMPUTE_PGM_RSRC2:USER_SGPR: 6
; COMPUTE_PGM_RSRC2:TRAP_HANDLER: 0
; COMPUTE_PGM_RSRC2:TGID_X_EN: 1
; COMPUTE_PGM_RSRC2:TGID_Y_EN: 1
; COMPUTE_PGM_RSRC2:TGID_Z_EN: 1
; COMPUTE_PGM_RSRC2:TIDIG_COMP_CNT: 1
; COMPUTE_PGM_RSRC3_GFX90A:ACCUM_OFFSET: 4
; COMPUTE_PGM_RSRC3_GFX90A:TG_SPLIT: 0
	.section	.text._ZN9rocsolver6v33100L38conj_unit_backward_substitution_kernelI19rocblas_complex_numIfEiPS3_EEvT0_S5_T1_S5_S5_llS6_S5_S5_ll,"axG",@progbits,_ZN9rocsolver6v33100L38conj_unit_backward_substitution_kernelI19rocblas_complex_numIfEiPS3_EEvT0_S5_T1_S5_S5_llS6_S5_S5_ll,comdat
	.globl	_ZN9rocsolver6v33100L38conj_unit_backward_substitution_kernelI19rocblas_complex_numIfEiPS3_EEvT0_S5_T1_S5_S5_llS6_S5_S5_ll ; -- Begin function _ZN9rocsolver6v33100L38conj_unit_backward_substitution_kernelI19rocblas_complex_numIfEiPS3_EEvT0_S5_T1_S5_S5_llS6_S5_S5_ll
	.p2align	8
	.type	_ZN9rocsolver6v33100L38conj_unit_backward_substitution_kernelI19rocblas_complex_numIfEiPS3_EEvT0_S5_T1_S5_S5_llS6_S5_S5_ll,@function
_ZN9rocsolver6v33100L38conj_unit_backward_substitution_kernelI19rocblas_complex_numIfEiPS3_EEvT0_S5_T1_S5_S5_llS6_S5_S5_ll: ; @_ZN9rocsolver6v33100L38conj_unit_backward_substitution_kernelI19rocblas_complex_numIfEiPS3_EEvT0_S5_T1_S5_S5_llS6_S5_S5_ll
; %bb.0:
	s_load_dword s0, s[4:5], 0x54
	s_load_dwordx2 s[10:11], s[4:5], 0x0
	v_bfe_u32 v4, v0, 10, 10
	s_waitcnt lgkmcnt(0)
	s_lshr_b32 s0, s0, 16
	s_mul_i32 s7, s7, s0
	v_add_u32_e32 v1, s7, v4
	v_cmp_gt_i32_e32 vcc, s11, v1
	s_and_saveexec_b64 s[0:1], vcc
	s_cbranch_execz .LBB4_10
; %bb.1:
	s_load_dwordx8 s[12:19], s[4:5], 0x28
	s_ashr_i32 s9, s8, 31
	v_and_b32_e32 v8, 0x3ff, v0
	s_waitcnt lgkmcnt(0)
	s_mul_i32 s0, s8, s19
	s_mul_hi_u32 s1, s8, s18
	s_mul_i32 s2, s9, s18
	s_add_i32 s0, s1, s0
	s_add_i32 s1, s0, s2
	s_mul_i32 s0, s8, s18
	s_lshl_b64 s[0:1], s[0:1], 3
	s_add_u32 s2, s12, s0
	s_addc_u32 s3, s13, s1
	s_lshl_b64 s[0:1], s[16:17], 3
	s_add_u32 s2, s2, s0
	v_mul_lo_u32 v0, v8, s14
	s_addc_u32 s3, s3, s1
	v_mad_u64_u32 v[0:1], s[0:1], v1, s15, v[0:1]
	v_ashrrev_i32_e32 v1, 31, v0
	v_lshlrev_b64 v[0:1], 3, v[0:1]
	v_mov_b32_e32 v2, s3
	v_add_co_u32_e32 v0, vcc, s2, v0
	v_addc_co_u32_e32 v1, vcc, v2, v1, vcc
	global_load_dwordx2 v[2:3], v[0:1], off
	s_cmp_lt_i32 s10, 2
	s_cbranch_scc1 .LBB4_9
; %bb.2:
	s_load_dwordx8 s[0:7], s[4:5], 0x8
	v_lshl_add_u32 v9, v4, 3, 0
	s_waitcnt lgkmcnt(0)
	v_mul_lo_u32 v5, v8, s2
	s_mul_i32 s2, s8, s7
	s_mul_hi_u32 s7, s8, s6
	s_mul_i32 s9, s9, s6
	s_add_i32 s2, s7, s2
	s_mul_i32 s6, s8, s6
	s_add_i32 s7, s2, s9
	s_lshl_b64 s[6:7], s[6:7], 3
	s_add_u32 s2, s0, s6
	s_addc_u32 s6, s1, s7
	s_lshl_b64 s[0:1], s[4:5], 3
	s_add_u32 s2, s2, s0
	s_addc_u32 s4, s6, s1
	s_add_i32 s5, s10, -1
	s_mul_i32 s0, s3, s5
	v_add_u32_e32 v4, s0, v5
.LBB4_3:                                ; =>This Inner Loop Header: Depth=1
	v_cmp_eq_u32_e32 vcc, s5, v8
	s_barrier
	s_and_saveexec_b64 s[0:1], vcc
	s_cbranch_execz .LBB4_5
; %bb.4:                                ;   in Loop: Header=BB4_3 Depth=1
	s_waitcnt vmcnt(0)
	ds_write_b64 v9, v[2:3]
.LBB4_5:                                ;   in Loop: Header=BB4_3 Depth=1
	s_or_b64 exec, exec, s[0:1]
	v_cmp_gt_i32_e32 vcc, s5, v8
	v_mov_b32_e32 v6, 0
	v_mov_b32_e32 v7, 0
	s_waitcnt lgkmcnt(0)
	s_barrier
	s_and_saveexec_b64 s[0:1], vcc
	s_cbranch_execz .LBB4_7
; %bb.6:                                ;   in Loop: Header=BB4_3 Depth=1
	v_ashrrev_i32_e32 v5, 31, v4
	v_lshlrev_b64 v[6:7], 3, v[4:5]
	v_mov_b32_e32 v5, s4
	v_add_co_u32_e32 v6, vcc, s2, v6
	v_addc_co_u32_e32 v7, vcc, v5, v7, vcc
	global_load_dwordx2 v[6:7], v[6:7], off
	ds_read_b64 v[10:11], v9
	s_waitcnt vmcnt(0) lgkmcnt(0)
	v_pk_mul_f32 v[14:15], v[6:7], v[10:11] op_sel:[1,0]
	v_pk_mul_f32 v[12:13], v[6:7], v[10:11] op_sel_hi:[0,1]
	v_pk_fma_f32 v[6:7], v[6:7], v[10:11], v[14:15] op_sel:[0,0,1] op_sel_hi:[0,1,0] neg_lo:[0,0,1] neg_hi:[0,0,1]
	v_add_f32_e32 v6, v12, v15
.LBB4_7:                                ;   in Loop: Header=BB4_3 Depth=1
	s_or_b64 exec, exec, s[0:1]
	s_add_i32 s0, s5, -1
	s_add_i32 s1, s5, 1
	s_waitcnt vmcnt(0)
	v_pk_add_f32 v[2:3], v[2:3], v[6:7] neg_lo:[0,1] neg_hi:[0,1]
	s_cmp_lt_u32 s1, 3
	v_subrev_u32_e32 v4, s3, v4
	s_cbranch_scc1 .LBB4_9
; %bb.8:                                ;   in Loop: Header=BB4_3 Depth=1
	s_mov_b32 s5, s0
	s_branch .LBB4_3
.LBB4_9:
	s_waitcnt vmcnt(0)
	global_store_dwordx2 v[0:1], v[2:3], off
.LBB4_10:
	s_endpgm
	.section	.rodata,"a",@progbits
	.p2align	6, 0x0
	.amdhsa_kernel _ZN9rocsolver6v33100L38conj_unit_backward_substitution_kernelI19rocblas_complex_numIfEiPS3_EEvT0_S5_T1_S5_S5_llS6_S5_S5_ll
		.amdhsa_group_segment_fixed_size 0
		.amdhsa_private_segment_fixed_size 0
		.amdhsa_kernarg_size 328
		.amdhsa_user_sgpr_count 6
		.amdhsa_user_sgpr_private_segment_buffer 1
		.amdhsa_user_sgpr_dispatch_ptr 0
		.amdhsa_user_sgpr_queue_ptr 0
		.amdhsa_user_sgpr_kernarg_segment_ptr 1
		.amdhsa_user_sgpr_dispatch_id 0
		.amdhsa_user_sgpr_flat_scratch_init 0
		.amdhsa_user_sgpr_kernarg_preload_length 0
		.amdhsa_user_sgpr_kernarg_preload_offset 0
		.amdhsa_user_sgpr_private_segment_size 0
		.amdhsa_uses_dynamic_stack 0
		.amdhsa_system_sgpr_private_segment_wavefront_offset 0
		.amdhsa_system_sgpr_workgroup_id_x 1
		.amdhsa_system_sgpr_workgroup_id_y 1
		.amdhsa_system_sgpr_workgroup_id_z 1
		.amdhsa_system_sgpr_workgroup_info 0
		.amdhsa_system_vgpr_workitem_id 1
		.amdhsa_next_free_vgpr 16
		.amdhsa_next_free_sgpr 20
		.amdhsa_accum_offset 16
		.amdhsa_reserve_vcc 1
		.amdhsa_reserve_flat_scratch 0
		.amdhsa_float_round_mode_32 0
		.amdhsa_float_round_mode_16_64 0
		.amdhsa_float_denorm_mode_32 3
		.amdhsa_float_denorm_mode_16_64 3
		.amdhsa_dx10_clamp 1
		.amdhsa_ieee_mode 1
		.amdhsa_fp16_overflow 0
		.amdhsa_tg_split 0
		.amdhsa_exception_fp_ieee_invalid_op 0
		.amdhsa_exception_fp_denorm_src 0
		.amdhsa_exception_fp_ieee_div_zero 0
		.amdhsa_exception_fp_ieee_overflow 0
		.amdhsa_exception_fp_ieee_underflow 0
		.amdhsa_exception_fp_ieee_inexact 0
		.amdhsa_exception_int_div_zero 0
	.end_amdhsa_kernel
	.section	.text._ZN9rocsolver6v33100L38conj_unit_backward_substitution_kernelI19rocblas_complex_numIfEiPS3_EEvT0_S5_T1_S5_S5_llS6_S5_S5_ll,"axG",@progbits,_ZN9rocsolver6v33100L38conj_unit_backward_substitution_kernelI19rocblas_complex_numIfEiPS3_EEvT0_S5_T1_S5_S5_llS6_S5_S5_ll,comdat
.Lfunc_end4:
	.size	_ZN9rocsolver6v33100L38conj_unit_backward_substitution_kernelI19rocblas_complex_numIfEiPS3_EEvT0_S5_T1_S5_S5_llS6_S5_S5_ll, .Lfunc_end4-_ZN9rocsolver6v33100L38conj_unit_backward_substitution_kernelI19rocblas_complex_numIfEiPS3_EEvT0_S5_T1_S5_S5_llS6_S5_S5_ll
                                        ; -- End function
	.section	.AMDGPU.csdata,"",@progbits
; Kernel info:
; codeLenInByte = 460
; NumSgprs: 24
; NumVgprs: 16
; NumAgprs: 0
; TotalNumVgprs: 16
; ScratchSize: 0
; MemoryBound: 0
; FloatMode: 240
; IeeeMode: 1
; LDSByteSize: 0 bytes/workgroup (compile time only)
; SGPRBlocks: 2
; VGPRBlocks: 1
; NumSGPRsForWavesPerEU: 24
; NumVGPRsForWavesPerEU: 16
; AccumOffset: 16
; Occupancy: 8
; WaveLimiterHint : 0
; COMPUTE_PGM_RSRC2:SCRATCH_EN: 0
; COMPUTE_PGM_RSRC2:USER_SGPR: 6
; COMPUTE_PGM_RSRC2:TRAP_HANDLER: 0
; COMPUTE_PGM_RSRC2:TGID_X_EN: 1
; COMPUTE_PGM_RSRC2:TGID_Y_EN: 1
; COMPUTE_PGM_RSRC2:TGID_Z_EN: 1
; COMPUTE_PGM_RSRC2:TIDIG_COMP_CNT: 1
; COMPUTE_PGM_RSRC3_GFX90A:ACCUM_OFFSET: 3
; COMPUTE_PGM_RSRC3_GFX90A:TG_SPLIT: 0
	.section	.text._ZN9rocsolver6v33100L41conj_nonunit_backward_substitution_kernelI19rocblas_complex_numIfEiPS3_EEvT0_S5_T1_S5_S5_llS6_S5_S5_ll,"axG",@progbits,_ZN9rocsolver6v33100L41conj_nonunit_backward_substitution_kernelI19rocblas_complex_numIfEiPS3_EEvT0_S5_T1_S5_S5_llS6_S5_S5_ll,comdat
	.globl	_ZN9rocsolver6v33100L41conj_nonunit_backward_substitution_kernelI19rocblas_complex_numIfEiPS3_EEvT0_S5_T1_S5_S5_llS6_S5_S5_ll ; -- Begin function _ZN9rocsolver6v33100L41conj_nonunit_backward_substitution_kernelI19rocblas_complex_numIfEiPS3_EEvT0_S5_T1_S5_S5_llS6_S5_S5_ll
	.p2align	8
	.type	_ZN9rocsolver6v33100L41conj_nonunit_backward_substitution_kernelI19rocblas_complex_numIfEiPS3_EEvT0_S5_T1_S5_S5_llS6_S5_S5_ll,@function
_ZN9rocsolver6v33100L41conj_nonunit_backward_substitution_kernelI19rocblas_complex_numIfEiPS3_EEvT0_S5_T1_S5_S5_llS6_S5_S5_ll: ; @_ZN9rocsolver6v33100L41conj_nonunit_backward_substitution_kernelI19rocblas_complex_numIfEiPS3_EEvT0_S5_T1_S5_S5_llS6_S5_S5_ll
; %bb.0:
	s_load_dword s0, s[4:5], 0x54
	s_load_dwordx2 s[10:11], s[4:5], 0x0
	v_bfe_u32 v6, v0, 10, 10
	s_waitcnt lgkmcnt(0)
	s_lshr_b32 s0, s0, 16
	s_mul_i32 s7, s7, s0
	v_add_u32_e32 v1, s7, v6
	v_cmp_gt_i32_e32 vcc, s11, v1
	s_and_saveexec_b64 s[0:1], vcc
	s_cbranch_execz .LBB5_20
; %bb.1:
	s_load_dwordx4 s[0:3], s[4:5], 0x18
	s_load_dwordx2 s[6:7], s[4:5], 0x8
	s_load_dwordx8 s[12:19], s[4:5], 0x28
	s_ashr_i32 s9, s8, 31
	v_and_b32_e32 v10, 0x3ff, v0
	s_waitcnt lgkmcnt(0)
	s_mul_i32 s3, s8, s3
	s_mul_hi_u32 s11, s8, s2
	s_add_i32 s3, s11, s3
	s_mul_i32 s11, s9, s2
	s_add_i32 s3, s3, s11
	s_mul_i32 s2, s8, s2
	s_lshl_b64 s[2:3], s[2:3], 3
	s_add_u32 s2, s6, s2
	s_addc_u32 s3, s7, s3
	s_lshl_b64 s[0:1], s[0:1], 3
	s_add_u32 s0, s2, s0
	s_addc_u32 s1, s3, s1
	s_mul_i32 s2, s8, s19
	s_mul_hi_u32 s3, s8, s18
	s_add_i32 s2, s3, s2
	s_mul_i32 s9, s9, s18
	s_add_i32 s3, s2, s9
	s_mul_i32 s2, s8, s18
	s_lshl_b64 s[2:3], s[2:3], 3
	s_add_u32 s6, s12, s2
	s_addc_u32 s7, s13, s3
	s_lshl_b64 s[2:3], s[16:17], 3
	s_add_u32 s6, s6, s2
	v_mul_lo_u32 v0, v10, s14
	s_addc_u32 s7, s7, s3
	v_mad_u64_u32 v[0:1], s[2:3], v1, s15, v[0:1]
	v_ashrrev_i32_e32 v1, 31, v0
	v_lshlrev_b64 v[0:1], 3, v[0:1]
	v_mov_b32_e32 v2, s7
	v_add_co_u32_e32 v0, vcc, s6, v0
	v_addc_co_u32_e32 v1, vcc, v2, v1, vcc
	global_load_dwordx2 v[2:3], v[0:1], off
	s_cmp_lt_i32 s10, 2
	s_cbranch_scc1 .LBB5_13
; %bb.2:
	s_load_dwordx2 s[2:3], s[4:5], 0x10
	v_mov_b32_e32 v7, s1
	v_lshl_add_u32 v11, v6, 3, 0
	s_waitcnt lgkmcnt(0)
	v_mul_lo_u32 v8, v10, s2
	s_add_i32 s2, s3, s2
	v_mul_lo_u32 v4, s2, v10
	v_ashrrev_i32_e32 v5, 31, v4
	v_lshlrev_b64 v[4:5], 3, v[4:5]
	s_add_i32 s2, s10, -1
	v_add_co_u32_e32 v4, vcc, s0, v4
	s_mul_i32 s4, s3, s2
	v_addc_co_u32_e32 v5, vcc, v7, v5, vcc
	v_add_u32_e32 v6, s4, v8
.LBB5_3:                                ; =>This Inner Loop Header: Depth=1
	v_cmp_eq_u32_e32 vcc, s2, v10
	s_barrier
	s_and_saveexec_b64 s[4:5], vcc
	s_cbranch_execz .LBB5_9
; %bb.4:                                ;   in Loop: Header=BB5_3 Depth=1
	global_load_dwordx2 v[8:9], v[4:5], off
	s_waitcnt vmcnt(0)
	v_cmp_gt_f32_e32 vcc, 0, v8
	v_cndmask_b32_e64 v7, v8, -v8, vcc
	v_cmp_lt_f32_e32 vcc, 0, v9
	v_cndmask_b32_e64 v12, -v9, v9, vcc
	v_cmp_ngt_f32_e32 vcc, v7, v12
	s_and_saveexec_b64 s[6:7], vcc
	s_xor_b64 s[6:7], exec, s[6:7]
	s_cbranch_execz .LBB5_6
; %bb.5:                                ;   in Loop: Header=BB5_3 Depth=1
	v_div_scale_f32 v7, s[8:9], -v9, -v9, v8
	v_rcp_f32_e32 v12, v7
	v_div_scale_f32 v13, vcc, v8, -v9, v8
	v_fma_f32 v14, -v7, v12, 1.0
	v_fmac_f32_e32 v12, v14, v12
	v_mul_f32_e32 v14, v13, v12
	v_fma_f32 v15, -v7, v14, v13
	v_fmac_f32_e32 v14, v15, v12
	v_fma_f32 v7, -v7, v14, v13
	v_div_fmas_f32 v7, v7, v12, v14
	v_div_fixup_f32 v7, v7, -v9, v8
	v_fma_f32 v8, v8, v7, -v9
	v_div_scale_f32 v9, s[8:9], v8, v8, 1.0
	v_rcp_f32_e32 v12, v9
	v_fma_f32 v13, -v9, v12, 1.0
	v_fmac_f32_e32 v12, v13, v12
	v_div_scale_f32 v13, vcc, 1.0, v8, 1.0
	v_mul_f32_e32 v14, v13, v12
	v_fma_f32 v15, -v9, v14, v13
	v_fmac_f32_e32 v14, v15, v12
	v_fma_f32 v9, -v9, v14, v13
	v_div_fmas_f32 v9, v9, v12, v14
	v_div_fixup_f32 v9, v9, v8, 1.0
	v_fma_f32 v8, v2, v7, v3
	v_fma_f32 v3, v3, v7, -v2
	v_mov_b32_e32 v2, v9
	v_pk_mul_f32 v[2:3], v[8:9], v[2:3]
                                        ; implicit-def: $vgpr8_vgpr9
.LBB5_6:                                ;   in Loop: Header=BB5_3 Depth=1
	s_andn2_saveexec_b64 s[6:7], s[6:7]
	s_cbranch_execz .LBB5_8
; %bb.7:                                ;   in Loop: Header=BB5_3 Depth=1
	v_div_scale_f32 v7, s[8:9], v8, v8, -v9
	v_rcp_f32_e32 v12, v7
	v_div_scale_f32 v13, vcc, -v9, v8, -v9
	v_fma_f32 v14, -v7, v12, 1.0
	v_fmac_f32_e32 v12, v14, v12
	v_mul_f32_e32 v14, v13, v12
	v_fma_f32 v15, -v7, v14, v13
	v_fmac_f32_e32 v14, v15, v12
	v_fma_f32 v7, -v7, v14, v13
	v_div_fmas_f32 v7, v7, v12, v14
	v_div_fixup_f32 v12, v7, v8, -v9
	v_fma_f32 v7, -v9, v12, v8
	v_div_scale_f32 v8, s[8:9], v7, v7, 1.0
	v_rcp_f32_e32 v9, v8
	v_fma_f32 v13, -v8, v9, 1.0
	v_fmac_f32_e32 v9, v13, v9
	v_div_scale_f32 v13, vcc, 1.0, v7, 1.0
	v_mul_f32_e32 v14, v13, v9
	v_fma_f32 v15, -v8, v14, v13
	v_fmac_f32_e32 v14, v15, v9
	v_fma_f32 v8, -v8, v14, v13
	v_pk_mul_f32 v[12:13], v[2:3], v[12:13] op_sel_hi:[1,0]
	v_div_fmas_f32 v8, v8, v9, v14
	v_pk_add_f32 v[14:15], v[2:3], v[12:13] op_sel:[0,1] op_sel_hi:[1,0]
	v_pk_add_f32 v[2:3], v[2:3], v[12:13] op_sel:[0,1] op_sel_hi:[1,0] neg_lo:[0,1] neg_hi:[0,1]
	v_div_fixup_f32 v8, v8, v7, 1.0
	v_mov_b32_e32 v15, v3
	v_pk_mul_f32 v[2:3], v[14:15], v[8:9] op_sel_hi:[1,0]
.LBB5_8:                                ;   in Loop: Header=BB5_3 Depth=1
	s_or_b64 exec, exec, s[6:7]
	ds_write_b64 v11, v[2:3]
.LBB5_9:                                ;   in Loop: Header=BB5_3 Depth=1
	s_or_b64 exec, exec, s[4:5]
	v_mov_b32_e32 v8, 0
	v_cmp_gt_i32_e32 vcc, s2, v10
	v_mov_b32_e32 v9, v8
	s_waitcnt lgkmcnt(0)
	s_barrier
	s_and_saveexec_b64 s[4:5], vcc
	s_cbranch_execz .LBB5_11
; %bb.10:                               ;   in Loop: Header=BB5_3 Depth=1
	v_ashrrev_i32_e32 v7, 31, v6
	v_lshlrev_b64 v[8:9], 3, v[6:7]
	v_mov_b32_e32 v7, s1
	v_add_co_u32_e32 v8, vcc, s0, v8
	v_addc_co_u32_e32 v9, vcc, v7, v9, vcc
	global_load_dwordx2 v[8:9], v[8:9], off
	ds_read_b64 v[12:13], v11
	s_waitcnt vmcnt(0) lgkmcnt(0)
	v_pk_mul_f32 v[16:17], v[8:9], v[12:13] op_sel:[1,0]
	v_pk_mul_f32 v[14:15], v[8:9], v[12:13] op_sel_hi:[0,1]
	v_pk_fma_f32 v[8:9], v[8:9], v[12:13], v[16:17] op_sel:[0,0,1] op_sel_hi:[0,1,0] neg_lo:[0,0,1] neg_hi:[0,0,1]
	v_add_f32_e32 v8, v14, v17
.LBB5_11:                               ;   in Loop: Header=BB5_3 Depth=1
	s_or_b64 exec, exec, s[4:5]
	s_add_i32 s4, s2, -1
	s_add_i32 s2, s2, 1
	s_waitcnt vmcnt(0)
	v_pk_add_f32 v[2:3], v[2:3], v[8:9] neg_lo:[0,1] neg_hi:[0,1]
	s_cmp_lt_u32 s2, 3
	v_subrev_u32_e32 v6, s3, v6
	s_cbranch_scc1 .LBB5_13
; %bb.12:                               ;   in Loop: Header=BB5_3 Depth=1
	s_mov_b32 s2, s4
	s_branch .LBB5_3
.LBB5_13:
	v_cmp_eq_u32_e32 vcc, 0, v10
	s_and_saveexec_b64 s[2:3], vcc
	s_cbranch_execz .LBB5_19
; %bb.14:
	s_load_dwordx2 s[0:1], s[0:1], 0x0
	s_waitcnt lgkmcnt(0)
	v_mov_b32_e32 v4, s0
	v_cmp_lt_f32_e64 s[4:5], s0, 0
	v_mov_b32_e32 v5, s1
	v_cndmask_b32_e64 v4, v4, -v4, s[4:5]
	v_cmp_gt_f32_e64 s[4:5], s1, 0
	v_cndmask_b32_e64 v5, -v5, v5, s[4:5]
	v_cmp_ngt_f32_e32 vcc, v4, v5
	s_cbranch_vccz .LBB5_16
; %bb.15:
	v_mov_b32_e32 v4, s0
	v_div_scale_f32 v5, s[4:5], -s1, -s1, v4
	v_rcp_f32_e32 v6, v5
	v_mov_b32_e32 v7, s1
	v_fma_f32 v8, -v5, v6, 1.0
	v_fmac_f32_e32 v6, v8, v6
	v_div_scale_f32 v8, vcc, s0, -v7, s0
	v_mul_f32_e32 v9, v8, v6
	v_fma_f32 v10, -v5, v9, v8
	v_fmac_f32_e32 v9, v10, v6
	v_fma_f32 v5, -v5, v9, v8
	v_div_fmas_f32 v5, v5, v6, v9
	v_div_fixup_f32 v6, v5, -s1, v4
	v_fma_f32 v4, s0, v6, -v7
	v_div_scale_f32 v5, s[4:5], v4, v4, 1.0
	v_rcp_f32_e32 v7, v5
	v_fma_f32 v8, -v5, v7, 1.0
	v_fmac_f32_e32 v7, v8, v7
	v_div_scale_f32 v8, vcc, 1.0, v4, 1.0
	v_mul_f32_e32 v9, v8, v7
	v_fma_f32 v10, -v5, v9, v8
	v_fmac_f32_e32 v9, v10, v7
	v_fma_f32 v5, -v5, v9, v8
	v_div_fmas_f32 v5, v5, v7, v9
	v_div_fixup_f32 v5, v5, v4, 1.0
	s_waitcnt vmcnt(0)
	v_fma_f32 v4, v2, v6, v3
	v_fma_f32 v7, v3, v6, -v2
	v_mov_b32_e32 v6, v5
	v_pk_mul_f32 v[4:5], v[4:5], v[6:7]
	s_cbranch_execz .LBB5_17
	s_branch .LBB5_18
.LBB5_16:
                                        ; implicit-def: $vgpr4_vgpr5
.LBB5_17:
	v_mov_b32_e32 v4, s1
	v_div_scale_f32 v5, s[4:5], s0, s0, -v4
	v_rcp_f32_e32 v6, v5
	v_mov_b32_e32 v7, s0
	v_fma_f32 v8, -v5, v6, 1.0
	v_fmac_f32_e32 v6, v8, v6
	v_div_scale_f32 v8, vcc, -s1, v7, -s1
	v_mul_f32_e32 v9, v8, v6
	v_fma_f32 v10, -v5, v9, v8
	v_fmac_f32_e32 v9, v10, v6
	v_fma_f32 v5, -v5, v9, v8
	v_div_fmas_f32 v5, v5, v6, v9
	v_div_fixup_f32 v4, v5, s0, -v4
	v_fma_f32 v5, -s1, v4, v7
	v_div_scale_f32 v6, s[0:1], v5, v5, 1.0
	v_rcp_f32_e32 v7, v6
	v_fma_f32 v8, -v6, v7, 1.0
	v_fmac_f32_e32 v7, v8, v7
	v_div_scale_f32 v8, vcc, 1.0, v5, 1.0
	v_mul_f32_e32 v9, v8, v7
	v_fma_f32 v10, -v6, v9, v8
	v_fmac_f32_e32 v9, v10, v7
	v_fma_f32 v6, -v6, v9, v8
	v_div_fmas_f32 v6, v6, v7, v9
	v_div_fixup_f32 v6, v6, v5, 1.0
	s_waitcnt vmcnt(0)
	v_pk_mul_f32 v[4:5], v[2:3], v[4:5] op_sel_hi:[1,0]
	v_pk_add_f32 v[8:9], v[2:3], v[4:5] op_sel:[0,1] op_sel_hi:[1,0]
	v_pk_add_f32 v[2:3], v[2:3], v[4:5] op_sel:[0,1] op_sel_hi:[1,0] neg_lo:[0,1] neg_hi:[0,1]
	v_mov_b32_e32 v9, v3
	v_pk_mul_f32 v[4:5], v[8:9], v[6:7] op_sel_hi:[1,0]
.LBB5_18:
	s_waitcnt vmcnt(0)
	v_pk_mov_b32 v[2:3], v[4:5], v[4:5] op_sel:[0,1]
.LBB5_19:
	s_or_b64 exec, exec, s[2:3]
	s_waitcnt vmcnt(0)
	global_store_dwordx2 v[0:1], v[2:3], off
.LBB5_20:
	s_endpgm
	.section	.rodata,"a",@progbits
	.p2align	6, 0x0
	.amdhsa_kernel _ZN9rocsolver6v33100L41conj_nonunit_backward_substitution_kernelI19rocblas_complex_numIfEiPS3_EEvT0_S5_T1_S5_S5_llS6_S5_S5_ll
		.amdhsa_group_segment_fixed_size 0
		.amdhsa_private_segment_fixed_size 0
		.amdhsa_kernarg_size 328
		.amdhsa_user_sgpr_count 6
		.amdhsa_user_sgpr_private_segment_buffer 1
		.amdhsa_user_sgpr_dispatch_ptr 0
		.amdhsa_user_sgpr_queue_ptr 0
		.amdhsa_user_sgpr_kernarg_segment_ptr 1
		.amdhsa_user_sgpr_dispatch_id 0
		.amdhsa_user_sgpr_flat_scratch_init 0
		.amdhsa_user_sgpr_kernarg_preload_length 0
		.amdhsa_user_sgpr_kernarg_preload_offset 0
		.amdhsa_user_sgpr_private_segment_size 0
		.amdhsa_uses_dynamic_stack 0
		.amdhsa_system_sgpr_private_segment_wavefront_offset 0
		.amdhsa_system_sgpr_workgroup_id_x 1
		.amdhsa_system_sgpr_workgroup_id_y 1
		.amdhsa_system_sgpr_workgroup_id_z 1
		.amdhsa_system_sgpr_workgroup_info 0
		.amdhsa_system_vgpr_workitem_id 1
		.amdhsa_next_free_vgpr 18
		.amdhsa_next_free_sgpr 20
		.amdhsa_accum_offset 20
		.amdhsa_reserve_vcc 1
		.amdhsa_reserve_flat_scratch 0
		.amdhsa_float_round_mode_32 0
		.amdhsa_float_round_mode_16_64 0
		.amdhsa_float_denorm_mode_32 3
		.amdhsa_float_denorm_mode_16_64 3
		.amdhsa_dx10_clamp 1
		.amdhsa_ieee_mode 1
		.amdhsa_fp16_overflow 0
		.amdhsa_tg_split 0
		.amdhsa_exception_fp_ieee_invalid_op 0
		.amdhsa_exception_fp_denorm_src 0
		.amdhsa_exception_fp_ieee_div_zero 0
		.amdhsa_exception_fp_ieee_overflow 0
		.amdhsa_exception_fp_ieee_underflow 0
		.amdhsa_exception_fp_ieee_inexact 0
		.amdhsa_exception_int_div_zero 0
	.end_amdhsa_kernel
	.section	.text._ZN9rocsolver6v33100L41conj_nonunit_backward_substitution_kernelI19rocblas_complex_numIfEiPS3_EEvT0_S5_T1_S5_S5_llS6_S5_S5_ll,"axG",@progbits,_ZN9rocsolver6v33100L41conj_nonunit_backward_substitution_kernelI19rocblas_complex_numIfEiPS3_EEvT0_S5_T1_S5_S5_llS6_S5_S5_ll,comdat
.Lfunc_end5:
	.size	_ZN9rocsolver6v33100L41conj_nonunit_backward_substitution_kernelI19rocblas_complex_numIfEiPS3_EEvT0_S5_T1_S5_S5_llS6_S5_S5_ll, .Lfunc_end5-_ZN9rocsolver6v33100L41conj_nonunit_backward_substitution_kernelI19rocblas_complex_numIfEiPS3_EEvT0_S5_T1_S5_S5_llS6_S5_S5_ll
                                        ; -- End function
	.section	.AMDGPU.csdata,"",@progbits
; Kernel info:
; codeLenInByte = 1428
; NumSgprs: 24
; NumVgprs: 18
; NumAgprs: 0
; TotalNumVgprs: 18
; ScratchSize: 0
; MemoryBound: 0
; FloatMode: 240
; IeeeMode: 1
; LDSByteSize: 0 bytes/workgroup (compile time only)
; SGPRBlocks: 2
; VGPRBlocks: 2
; NumSGPRsForWavesPerEU: 24
; NumVGPRsForWavesPerEU: 18
; AccumOffset: 20
; Occupancy: 8
; WaveLimiterHint : 0
; COMPUTE_PGM_RSRC2:SCRATCH_EN: 0
; COMPUTE_PGM_RSRC2:USER_SGPR: 6
; COMPUTE_PGM_RSRC2:TRAP_HANDLER: 0
; COMPUTE_PGM_RSRC2:TGID_X_EN: 1
; COMPUTE_PGM_RSRC2:TGID_Y_EN: 1
; COMPUTE_PGM_RSRC2:TGID_Z_EN: 1
; COMPUTE_PGM_RSRC2:TIDIG_COMP_CNT: 1
; COMPUTE_PGM_RSRC3_GFX90A:ACCUM_OFFSET: 4
; COMPUTE_PGM_RSRC3_GFX90A:TG_SPLIT: 0
	.section	.text._ZN9rocsolver6v33100L33unit_backward_substitution_kernelI19rocblas_complex_numIfEiPS3_EEvT0_S5_T1_S5_S5_llS6_S5_S5_ll,"axG",@progbits,_ZN9rocsolver6v33100L33unit_backward_substitution_kernelI19rocblas_complex_numIfEiPS3_EEvT0_S5_T1_S5_S5_llS6_S5_S5_ll,comdat
	.globl	_ZN9rocsolver6v33100L33unit_backward_substitution_kernelI19rocblas_complex_numIfEiPS3_EEvT0_S5_T1_S5_S5_llS6_S5_S5_ll ; -- Begin function _ZN9rocsolver6v33100L33unit_backward_substitution_kernelI19rocblas_complex_numIfEiPS3_EEvT0_S5_T1_S5_S5_llS6_S5_S5_ll
	.p2align	8
	.type	_ZN9rocsolver6v33100L33unit_backward_substitution_kernelI19rocblas_complex_numIfEiPS3_EEvT0_S5_T1_S5_S5_llS6_S5_S5_ll,@function
_ZN9rocsolver6v33100L33unit_backward_substitution_kernelI19rocblas_complex_numIfEiPS3_EEvT0_S5_T1_S5_S5_llS6_S5_S5_ll: ; @_ZN9rocsolver6v33100L33unit_backward_substitution_kernelI19rocblas_complex_numIfEiPS3_EEvT0_S5_T1_S5_S5_llS6_S5_S5_ll
; %bb.0:
	s_load_dword s0, s[4:5], 0x54
	s_load_dwordx2 s[10:11], s[4:5], 0x0
	v_bfe_u32 v4, v0, 10, 10
	s_waitcnt lgkmcnt(0)
	s_lshr_b32 s0, s0, 16
	s_mul_i32 s7, s7, s0
	v_add_u32_e32 v1, s7, v4
	v_cmp_gt_i32_e32 vcc, s11, v1
	s_and_saveexec_b64 s[0:1], vcc
	s_cbranch_execz .LBB6_10
; %bb.1:
	s_load_dwordx8 s[12:19], s[4:5], 0x28
	s_ashr_i32 s9, s8, 31
	v_and_b32_e32 v8, 0x3ff, v0
	s_waitcnt lgkmcnt(0)
	s_mul_i32 s0, s8, s19
	s_mul_hi_u32 s1, s8, s18
	s_mul_i32 s2, s9, s18
	s_add_i32 s0, s1, s0
	s_add_i32 s1, s0, s2
	s_mul_i32 s0, s8, s18
	s_lshl_b64 s[0:1], s[0:1], 3
	s_add_u32 s2, s12, s0
	s_addc_u32 s3, s13, s1
	s_lshl_b64 s[0:1], s[16:17], 3
	s_add_u32 s2, s2, s0
	v_mul_lo_u32 v0, v8, s14
	s_addc_u32 s3, s3, s1
	v_mad_u64_u32 v[0:1], s[0:1], v1, s15, v[0:1]
	v_ashrrev_i32_e32 v1, 31, v0
	v_lshlrev_b64 v[0:1], 3, v[0:1]
	v_mov_b32_e32 v2, s3
	v_add_co_u32_e32 v0, vcc, s2, v0
	v_addc_co_u32_e32 v1, vcc, v2, v1, vcc
	global_load_dwordx2 v[2:3], v[0:1], off
	s_cmp_lt_i32 s10, 2
	s_cbranch_scc1 .LBB6_9
; %bb.2:
	s_load_dwordx8 s[0:7], s[4:5], 0x8
	v_lshl_add_u32 v9, v4, 3, 0
	s_waitcnt lgkmcnt(0)
	v_mul_lo_u32 v5, v8, s2
	s_mul_i32 s2, s8, s7
	s_mul_hi_u32 s7, s8, s6
	s_mul_i32 s9, s9, s6
	s_add_i32 s2, s7, s2
	s_mul_i32 s6, s8, s6
	s_add_i32 s7, s2, s9
	s_lshl_b64 s[6:7], s[6:7], 3
	s_add_u32 s2, s0, s6
	s_addc_u32 s6, s1, s7
	s_lshl_b64 s[0:1], s[4:5], 3
	s_add_u32 s2, s2, s0
	s_addc_u32 s4, s6, s1
	s_add_i32 s5, s10, -1
	s_mul_i32 s0, s3, s5
	v_add_u32_e32 v4, s0, v5
.LBB6_3:                                ; =>This Inner Loop Header: Depth=1
	v_cmp_eq_u32_e32 vcc, s5, v8
	s_barrier
	s_and_saveexec_b64 s[0:1], vcc
	s_cbranch_execz .LBB6_5
; %bb.4:                                ;   in Loop: Header=BB6_3 Depth=1
	s_waitcnt vmcnt(0)
	ds_write_b64 v9, v[2:3]
.LBB6_5:                                ;   in Loop: Header=BB6_3 Depth=1
	s_or_b64 exec, exec, s[0:1]
	v_cmp_gt_i32_e32 vcc, s5, v8
	v_mov_b32_e32 v6, 0
	v_mov_b32_e32 v7, 0
	s_waitcnt lgkmcnt(0)
	s_barrier
	s_and_saveexec_b64 s[0:1], vcc
	s_cbranch_execz .LBB6_7
; %bb.6:                                ;   in Loop: Header=BB6_3 Depth=1
	v_ashrrev_i32_e32 v5, 31, v4
	v_lshlrev_b64 v[6:7], 3, v[4:5]
	v_mov_b32_e32 v5, s4
	v_add_co_u32_e32 v6, vcc, s2, v6
	v_addc_co_u32_e32 v7, vcc, v5, v7, vcc
	global_load_dwordx2 v[6:7], v[6:7], off
	ds_read_b64 v[10:11], v9
	s_waitcnt vmcnt(0) lgkmcnt(0)
	v_pk_mul_f32 v[12:13], v[10:11], v[6:7] op_sel:[0,1]
	v_pk_mul_f32 v[14:15], v[10:11], v[6:7] op_sel_hi:[1,0]
	v_pk_fma_f32 v[6:7], v[10:11], v[6:7], v[12:13] op_sel:[0,0,1] op_sel_hi:[1,0,0]
	v_sub_f32_e32 v6, v14, v13
.LBB6_7:                                ;   in Loop: Header=BB6_3 Depth=1
	s_or_b64 exec, exec, s[0:1]
	s_add_i32 s0, s5, -1
	s_add_i32 s1, s5, 1
	s_waitcnt vmcnt(0)
	v_pk_add_f32 v[2:3], v[2:3], v[6:7] neg_lo:[0,1] neg_hi:[0,1]
	s_cmp_lt_u32 s1, 3
	v_subrev_u32_e32 v4, s3, v4
	s_cbranch_scc1 .LBB6_9
; %bb.8:                                ;   in Loop: Header=BB6_3 Depth=1
	s_mov_b32 s5, s0
	s_branch .LBB6_3
.LBB6_9:
	s_waitcnt vmcnt(0)
	global_store_dwordx2 v[0:1], v[2:3], off
.LBB6_10:
	s_endpgm
	.section	.rodata,"a",@progbits
	.p2align	6, 0x0
	.amdhsa_kernel _ZN9rocsolver6v33100L33unit_backward_substitution_kernelI19rocblas_complex_numIfEiPS3_EEvT0_S5_T1_S5_S5_llS6_S5_S5_ll
		.amdhsa_group_segment_fixed_size 0
		.amdhsa_private_segment_fixed_size 0
		.amdhsa_kernarg_size 328
		.amdhsa_user_sgpr_count 6
		.amdhsa_user_sgpr_private_segment_buffer 1
		.amdhsa_user_sgpr_dispatch_ptr 0
		.amdhsa_user_sgpr_queue_ptr 0
		.amdhsa_user_sgpr_kernarg_segment_ptr 1
		.amdhsa_user_sgpr_dispatch_id 0
		.amdhsa_user_sgpr_flat_scratch_init 0
		.amdhsa_user_sgpr_kernarg_preload_length 0
		.amdhsa_user_sgpr_kernarg_preload_offset 0
		.amdhsa_user_sgpr_private_segment_size 0
		.amdhsa_uses_dynamic_stack 0
		.amdhsa_system_sgpr_private_segment_wavefront_offset 0
		.amdhsa_system_sgpr_workgroup_id_x 1
		.amdhsa_system_sgpr_workgroup_id_y 1
		.amdhsa_system_sgpr_workgroup_id_z 1
		.amdhsa_system_sgpr_workgroup_info 0
		.amdhsa_system_vgpr_workitem_id 1
		.amdhsa_next_free_vgpr 16
		.amdhsa_next_free_sgpr 20
		.amdhsa_accum_offset 16
		.amdhsa_reserve_vcc 1
		.amdhsa_reserve_flat_scratch 0
		.amdhsa_float_round_mode_32 0
		.amdhsa_float_round_mode_16_64 0
		.amdhsa_float_denorm_mode_32 3
		.amdhsa_float_denorm_mode_16_64 3
		.amdhsa_dx10_clamp 1
		.amdhsa_ieee_mode 1
		.amdhsa_fp16_overflow 0
		.amdhsa_tg_split 0
		.amdhsa_exception_fp_ieee_invalid_op 0
		.amdhsa_exception_fp_denorm_src 0
		.amdhsa_exception_fp_ieee_div_zero 0
		.amdhsa_exception_fp_ieee_overflow 0
		.amdhsa_exception_fp_ieee_underflow 0
		.amdhsa_exception_fp_ieee_inexact 0
		.amdhsa_exception_int_div_zero 0
	.end_amdhsa_kernel
	.section	.text._ZN9rocsolver6v33100L33unit_backward_substitution_kernelI19rocblas_complex_numIfEiPS3_EEvT0_S5_T1_S5_S5_llS6_S5_S5_ll,"axG",@progbits,_ZN9rocsolver6v33100L33unit_backward_substitution_kernelI19rocblas_complex_numIfEiPS3_EEvT0_S5_T1_S5_S5_llS6_S5_S5_ll,comdat
.Lfunc_end6:
	.size	_ZN9rocsolver6v33100L33unit_backward_substitution_kernelI19rocblas_complex_numIfEiPS3_EEvT0_S5_T1_S5_S5_llS6_S5_S5_ll, .Lfunc_end6-_ZN9rocsolver6v33100L33unit_backward_substitution_kernelI19rocblas_complex_numIfEiPS3_EEvT0_S5_T1_S5_S5_llS6_S5_S5_ll
                                        ; -- End function
	.section	.AMDGPU.csdata,"",@progbits
; Kernel info:
; codeLenInByte = 460
; NumSgprs: 24
; NumVgprs: 16
; NumAgprs: 0
; TotalNumVgprs: 16
; ScratchSize: 0
; MemoryBound: 0
; FloatMode: 240
; IeeeMode: 1
; LDSByteSize: 0 bytes/workgroup (compile time only)
; SGPRBlocks: 2
; VGPRBlocks: 1
; NumSGPRsForWavesPerEU: 24
; NumVGPRsForWavesPerEU: 16
; AccumOffset: 16
; Occupancy: 8
; WaveLimiterHint : 0
; COMPUTE_PGM_RSRC2:SCRATCH_EN: 0
; COMPUTE_PGM_RSRC2:USER_SGPR: 6
; COMPUTE_PGM_RSRC2:TRAP_HANDLER: 0
; COMPUTE_PGM_RSRC2:TGID_X_EN: 1
; COMPUTE_PGM_RSRC2:TGID_Y_EN: 1
; COMPUTE_PGM_RSRC2:TGID_Z_EN: 1
; COMPUTE_PGM_RSRC2:TIDIG_COMP_CNT: 1
; COMPUTE_PGM_RSRC3_GFX90A:ACCUM_OFFSET: 3
; COMPUTE_PGM_RSRC3_GFX90A:TG_SPLIT: 0
	.section	.text._ZN9rocsolver6v33100L36nonunit_backward_substitution_kernelI19rocblas_complex_numIfEiPS3_EEvT0_S5_T1_S5_S5_llS6_S5_S5_ll,"axG",@progbits,_ZN9rocsolver6v33100L36nonunit_backward_substitution_kernelI19rocblas_complex_numIfEiPS3_EEvT0_S5_T1_S5_S5_llS6_S5_S5_ll,comdat
	.globl	_ZN9rocsolver6v33100L36nonunit_backward_substitution_kernelI19rocblas_complex_numIfEiPS3_EEvT0_S5_T1_S5_S5_llS6_S5_S5_ll ; -- Begin function _ZN9rocsolver6v33100L36nonunit_backward_substitution_kernelI19rocblas_complex_numIfEiPS3_EEvT0_S5_T1_S5_S5_llS6_S5_S5_ll
	.p2align	8
	.type	_ZN9rocsolver6v33100L36nonunit_backward_substitution_kernelI19rocblas_complex_numIfEiPS3_EEvT0_S5_T1_S5_S5_llS6_S5_S5_ll,@function
_ZN9rocsolver6v33100L36nonunit_backward_substitution_kernelI19rocblas_complex_numIfEiPS3_EEvT0_S5_T1_S5_S5_llS6_S5_S5_ll: ; @_ZN9rocsolver6v33100L36nonunit_backward_substitution_kernelI19rocblas_complex_numIfEiPS3_EEvT0_S5_T1_S5_S5_llS6_S5_S5_ll
; %bb.0:
	s_load_dword s0, s[4:5], 0x54
	s_load_dwordx2 s[10:11], s[4:5], 0x0
	v_bfe_u32 v6, v0, 10, 10
	s_waitcnt lgkmcnt(0)
	s_lshr_b32 s0, s0, 16
	s_mul_i32 s7, s7, s0
	v_add_u32_e32 v1, s7, v6
	v_cmp_gt_i32_e32 vcc, s11, v1
	s_and_saveexec_b64 s[0:1], vcc
	s_cbranch_execz .LBB7_20
; %bb.1:
	s_load_dwordx4 s[0:3], s[4:5], 0x18
	s_load_dwordx2 s[6:7], s[4:5], 0x8
	s_load_dwordx8 s[12:19], s[4:5], 0x28
	s_ashr_i32 s9, s8, 31
	v_and_b32_e32 v10, 0x3ff, v0
	s_waitcnt lgkmcnt(0)
	s_mul_i32 s3, s8, s3
	s_mul_hi_u32 s11, s8, s2
	s_add_i32 s3, s11, s3
	s_mul_i32 s11, s9, s2
	s_add_i32 s3, s3, s11
	s_mul_i32 s2, s8, s2
	s_lshl_b64 s[2:3], s[2:3], 3
	s_add_u32 s2, s6, s2
	s_addc_u32 s3, s7, s3
	s_lshl_b64 s[0:1], s[0:1], 3
	s_add_u32 s0, s2, s0
	s_addc_u32 s1, s3, s1
	s_mul_i32 s2, s8, s19
	s_mul_hi_u32 s3, s8, s18
	s_add_i32 s2, s3, s2
	s_mul_i32 s9, s9, s18
	s_add_i32 s3, s2, s9
	s_mul_i32 s2, s8, s18
	s_lshl_b64 s[2:3], s[2:3], 3
	s_add_u32 s6, s12, s2
	s_addc_u32 s7, s13, s3
	s_lshl_b64 s[2:3], s[16:17], 3
	s_add_u32 s6, s6, s2
	v_mul_lo_u32 v0, v10, s14
	s_addc_u32 s7, s7, s3
	v_mad_u64_u32 v[0:1], s[2:3], v1, s15, v[0:1]
	v_ashrrev_i32_e32 v1, 31, v0
	v_lshlrev_b64 v[0:1], 3, v[0:1]
	v_mov_b32_e32 v2, s7
	v_add_co_u32_e32 v0, vcc, s6, v0
	v_addc_co_u32_e32 v1, vcc, v2, v1, vcc
	global_load_dwordx2 v[2:3], v[0:1], off
	s_cmp_lt_i32 s10, 2
	s_cbranch_scc1 .LBB7_13
; %bb.2:
	s_load_dwordx2 s[2:3], s[4:5], 0x10
	v_mov_b32_e32 v7, s1
	v_lshl_add_u32 v11, v6, 3, 0
	s_waitcnt lgkmcnt(0)
	v_mul_lo_u32 v8, v10, s2
	s_add_i32 s2, s3, s2
	v_mul_lo_u32 v4, s2, v10
	v_ashrrev_i32_e32 v5, 31, v4
	v_lshlrev_b64 v[4:5], 3, v[4:5]
	s_add_i32 s2, s10, -1
	v_add_co_u32_e32 v4, vcc, s0, v4
	s_mul_i32 s4, s3, s2
	v_addc_co_u32_e32 v5, vcc, v7, v5, vcc
	v_add_u32_e32 v6, s4, v8
.LBB7_3:                                ; =>This Inner Loop Header: Depth=1
	v_cmp_eq_u32_e32 vcc, s2, v10
	s_barrier
	s_and_saveexec_b64 s[4:5], vcc
	s_cbranch_execz .LBB7_9
; %bb.4:                                ;   in Loop: Header=BB7_3 Depth=1
	global_load_dwordx2 v[8:9], v[4:5], off
	s_waitcnt vmcnt(0)
	v_cmp_gt_f32_e32 vcc, 0, v9
	v_cndmask_b32_e64 v7, v9, -v9, vcc
	v_cmp_gt_f32_e32 vcc, 0, v8
	v_cndmask_b32_e64 v12, v8, -v8, vcc
	v_cmp_ngt_f32_e32 vcc, v12, v7
	s_and_saveexec_b64 s[6:7], vcc
	s_xor_b64 s[6:7], exec, s[6:7]
	s_cbranch_execz .LBB7_6
; %bb.5:                                ;   in Loop: Header=BB7_3 Depth=1
	v_div_scale_f32 v7, s[8:9], v9, v9, v8
	v_rcp_f32_e32 v12, v7
	v_div_scale_f32 v13, vcc, v8, v9, v8
	v_fma_f32 v14, -v7, v12, 1.0
	v_fmac_f32_e32 v12, v14, v12
	v_mul_f32_e32 v14, v13, v12
	v_fma_f32 v15, -v7, v14, v13
	v_fmac_f32_e32 v14, v15, v12
	v_fma_f32 v7, -v7, v14, v13
	v_div_fmas_f32 v7, v7, v12, v14
	v_div_fixup_f32 v12, v7, v9, v8
	v_fmac_f32_e32 v9, v8, v12
	v_div_scale_f32 v7, s[8:9], v9, v9, 1.0
	v_rcp_f32_e32 v8, v7
	v_fma_f32 v13, -v7, v8, 1.0
	v_fmac_f32_e32 v8, v13, v8
	v_div_scale_f32 v13, vcc, 1.0, v9, 1.0
	v_mul_f32_e32 v14, v13, v8
	v_fma_f32 v15, -v7, v14, v13
	v_fmac_f32_e32 v14, v15, v8
	v_fma_f32 v7, -v7, v14, v13
	v_div_fmas_f32 v7, v7, v8, v14
	v_pk_fma_f32 v[14:15], v[2:3], v[12:13], v[2:3] op_sel:[0,0,1] op_sel_hi:[1,0,0] neg_lo:[0,0,1] neg_hi:[0,0,1]
	v_pk_fma_f32 v[2:3], v[2:3], v[12:13], v[2:3] op_sel:[0,0,1] op_sel_hi:[1,0,0]
	v_div_fixup_f32 v8, v7, v9, 1.0
	v_mov_b32_e32 v3, v15
	v_pk_mul_f32 v[2:3], v[2:3], v[8:9] op_sel_hi:[1,0]
                                        ; implicit-def: $vgpr8_vgpr9
.LBB7_6:                                ;   in Loop: Header=BB7_3 Depth=1
	s_andn2_saveexec_b64 s[6:7], s[6:7]
	s_cbranch_execz .LBB7_8
; %bb.7:                                ;   in Loop: Header=BB7_3 Depth=1
	v_div_scale_f32 v7, s[8:9], v8, v8, v9
	v_rcp_f32_e32 v12, v7
	v_div_scale_f32 v13, vcc, v9, v8, v9
	v_fma_f32 v14, -v7, v12, 1.0
	v_fmac_f32_e32 v12, v14, v12
	v_mul_f32_e32 v14, v13, v12
	v_fma_f32 v15, -v7, v14, v13
	v_fmac_f32_e32 v14, v15, v12
	v_fma_f32 v7, -v7, v14, v13
	v_div_fmas_f32 v7, v7, v12, v14
	v_div_fixup_f32 v12, v7, v8, v9
	v_fmac_f32_e32 v8, v9, v12
	v_div_scale_f32 v7, s[8:9], v8, v8, 1.0
	v_rcp_f32_e32 v9, v7
	v_fma_f32 v13, -v7, v9, 1.0
	v_fmac_f32_e32 v9, v13, v9
	v_div_scale_f32 v13, vcc, 1.0, v8, 1.0
	v_mul_f32_e32 v14, v13, v9
	v_fma_f32 v15, -v7, v14, v13
	v_fmac_f32_e32 v14, v15, v9
	v_fma_f32 v7, -v7, v14, v13
	v_pk_mul_f32 v[12:13], v[2:3], v[12:13] op_sel_hi:[1,0]
	v_div_fmas_f32 v7, v7, v9, v14
	v_pk_add_f32 v[14:15], v[2:3], v[12:13] op_sel:[0,1] op_sel_hi:[1,0] neg_lo:[0,1] neg_hi:[0,1]
	v_pk_add_f32 v[2:3], v[2:3], v[12:13] op_sel:[0,1] op_sel_hi:[1,0]
	v_div_fixup_f32 v8, v7, v8, 1.0
	v_mov_b32_e32 v3, v15
	v_pk_mul_f32 v[2:3], v[2:3], v[8:9] op_sel_hi:[1,0]
.LBB7_8:                                ;   in Loop: Header=BB7_3 Depth=1
	s_or_b64 exec, exec, s[6:7]
	ds_write_b64 v11, v[2:3]
.LBB7_9:                                ;   in Loop: Header=BB7_3 Depth=1
	s_or_b64 exec, exec, s[4:5]
	v_mov_b32_e32 v8, 0
	v_cmp_gt_i32_e32 vcc, s2, v10
	v_mov_b32_e32 v9, v8
	s_waitcnt lgkmcnt(0)
	s_barrier
	s_and_saveexec_b64 s[4:5], vcc
	s_cbranch_execz .LBB7_11
; %bb.10:                               ;   in Loop: Header=BB7_3 Depth=1
	v_ashrrev_i32_e32 v7, 31, v6
	v_lshlrev_b64 v[8:9], 3, v[6:7]
	v_mov_b32_e32 v7, s1
	v_add_co_u32_e32 v8, vcc, s0, v8
	v_addc_co_u32_e32 v9, vcc, v7, v9, vcc
	global_load_dwordx2 v[8:9], v[8:9], off
	ds_read_b64 v[12:13], v11
	s_waitcnt vmcnt(0) lgkmcnt(0)
	v_pk_mul_f32 v[14:15], v[12:13], v[8:9] op_sel:[0,1]
	v_pk_mul_f32 v[16:17], v[12:13], v[8:9] op_sel_hi:[1,0]
	v_pk_fma_f32 v[8:9], v[12:13], v[8:9], v[14:15] op_sel:[0,0,1] op_sel_hi:[1,0,0]
	v_sub_f32_e32 v8, v16, v15
.LBB7_11:                               ;   in Loop: Header=BB7_3 Depth=1
	s_or_b64 exec, exec, s[4:5]
	s_add_i32 s4, s2, -1
	s_add_i32 s2, s2, 1
	s_waitcnt vmcnt(0)
	v_pk_add_f32 v[2:3], v[2:3], v[8:9] neg_lo:[0,1] neg_hi:[0,1]
	s_cmp_lt_u32 s2, 3
	v_subrev_u32_e32 v6, s3, v6
	s_cbranch_scc1 .LBB7_13
; %bb.12:                               ;   in Loop: Header=BB7_3 Depth=1
	s_mov_b32 s2, s4
	s_branch .LBB7_3
.LBB7_13:
	v_cmp_eq_u32_e32 vcc, 0, v10
	s_and_saveexec_b64 s[2:3], vcc
	s_cbranch_execz .LBB7_19
; %bb.14:
	s_load_dwordx2 s[0:1], s[0:1], 0x0
	s_waitcnt lgkmcnt(0)
	v_mov_b32_e32 v4, s1
	v_cmp_lt_f32_e64 s[4:5], s1, 0
	v_mov_b32_e32 v5, s0
	v_cndmask_b32_e64 v4, v4, -v4, s[4:5]
	v_cmp_lt_f32_e64 s[4:5], s0, 0
	v_cndmask_b32_e64 v5, v5, -v5, s[4:5]
	v_cmp_ngt_f32_e32 vcc, v5, v4
	s_cbranch_vccz .LBB7_16
; %bb.15:
	v_mov_b32_e32 v4, s0
	v_div_scale_f32 v5, s[4:5], s1, s1, v4
	v_rcp_f32_e32 v6, v5
	v_mov_b32_e32 v7, s1
	v_fma_f32 v8, -v5, v6, 1.0
	v_fmac_f32_e32 v6, v8, v6
	v_div_scale_f32 v8, vcc, s0, v7, s0
	v_mul_f32_e32 v9, v8, v6
	v_fma_f32 v10, -v5, v9, v8
	v_fmac_f32_e32 v9, v10, v6
	v_fma_f32 v5, -v5, v9, v8
	v_div_fmas_f32 v5, v5, v6, v9
	v_div_fixup_f32 v5, v5, s1, v4
	v_fma_f32 v4, s0, v5, v7
	v_div_scale_f32 v6, s[4:5], v4, v4, 1.0
	v_rcp_f32_e32 v7, v6
	v_fma_f32 v8, -v6, v7, 1.0
	v_fmac_f32_e32 v7, v8, v7
	v_div_scale_f32 v8, vcc, 1.0, v4, 1.0
	v_mul_f32_e32 v9, v8, v7
	v_fma_f32 v10, -v6, v9, v8
	v_fmac_f32_e32 v9, v10, v7
	v_fma_f32 v6, -v6, v9, v8
	v_div_fmas_f32 v6, v6, v7, v9
	v_div_fixup_f32 v6, v6, v4, 1.0
	s_waitcnt vmcnt(0)
	v_fma_f32 v4, v2, v5, v3
	v_fma_f32 v5, v3, v5, -v2
	v_mul_f32_e32 v4, v4, v6
	v_mul_f32_e32 v5, v5, v6
	s_cbranch_execz .LBB7_17
	s_branch .LBB7_18
.LBB7_16:
                                        ; implicit-def: $vgpr4
                                        ; implicit-def: $vgpr5
.LBB7_17:
	v_mov_b32_e32 v4, s1
	v_div_scale_f32 v5, s[4:5], s0, s0, v4
	v_rcp_f32_e32 v6, v5
	v_mov_b32_e32 v7, s0
	v_fma_f32 v8, -v5, v6, 1.0
	v_fmac_f32_e32 v6, v8, v6
	v_div_scale_f32 v8, vcc, s1, v7, s1
	v_mul_f32_e32 v9, v8, v6
	v_fma_f32 v10, -v5, v9, v8
	v_fmac_f32_e32 v9, v10, v6
	v_fma_f32 v5, -v5, v9, v8
	v_div_fmas_f32 v5, v5, v6, v9
	v_div_fixup_f32 v5, v5, s0, v4
	v_fma_f32 v4, s1, v5, v7
	v_div_scale_f32 v6, s[0:1], v4, v4, 1.0
	v_rcp_f32_e32 v7, v6
	v_fma_f32 v8, -v6, v7, 1.0
	v_fmac_f32_e32 v7, v8, v7
	v_div_scale_f32 v8, vcc, 1.0, v4, 1.0
	v_mul_f32_e32 v9, v8, v7
	v_fma_f32 v10, -v6, v9, v8
	v_fmac_f32_e32 v9, v10, v7
	v_fma_f32 v6, -v6, v9, v8
	v_div_fmas_f32 v6, v6, v7, v9
	v_div_fixup_f32 v6, v6, v4, 1.0
	s_waitcnt vmcnt(0)
	v_fma_f32 v4, v3, v5, v2
	v_fma_f32 v2, -v2, v5, v3
	v_mul_f32_e32 v4, v4, v6
	v_mul_f32_e32 v5, v2, v6
.LBB7_18:
	s_waitcnt vmcnt(0)
	v_mov_b32_e32 v3, v5
	v_mov_b32_e32 v2, v4
.LBB7_19:
	s_or_b64 exec, exec, s[2:3]
	s_waitcnt vmcnt(0)
	global_store_dwordx2 v[0:1], v[2:3], off
.LBB7_20:
	s_endpgm
	.section	.rodata,"a",@progbits
	.p2align	6, 0x0
	.amdhsa_kernel _ZN9rocsolver6v33100L36nonunit_backward_substitution_kernelI19rocblas_complex_numIfEiPS3_EEvT0_S5_T1_S5_S5_llS6_S5_S5_ll
		.amdhsa_group_segment_fixed_size 0
		.amdhsa_private_segment_fixed_size 0
		.amdhsa_kernarg_size 328
		.amdhsa_user_sgpr_count 6
		.amdhsa_user_sgpr_private_segment_buffer 1
		.amdhsa_user_sgpr_dispatch_ptr 0
		.amdhsa_user_sgpr_queue_ptr 0
		.amdhsa_user_sgpr_kernarg_segment_ptr 1
		.amdhsa_user_sgpr_dispatch_id 0
		.amdhsa_user_sgpr_flat_scratch_init 0
		.amdhsa_user_sgpr_kernarg_preload_length 0
		.amdhsa_user_sgpr_kernarg_preload_offset 0
		.amdhsa_user_sgpr_private_segment_size 0
		.amdhsa_uses_dynamic_stack 0
		.amdhsa_system_sgpr_private_segment_wavefront_offset 0
		.amdhsa_system_sgpr_workgroup_id_x 1
		.amdhsa_system_sgpr_workgroup_id_y 1
		.amdhsa_system_sgpr_workgroup_id_z 1
		.amdhsa_system_sgpr_workgroup_info 0
		.amdhsa_system_vgpr_workitem_id 1
		.amdhsa_next_free_vgpr 18
		.amdhsa_next_free_sgpr 20
		.amdhsa_accum_offset 20
		.amdhsa_reserve_vcc 1
		.amdhsa_reserve_flat_scratch 0
		.amdhsa_float_round_mode_32 0
		.amdhsa_float_round_mode_16_64 0
		.amdhsa_float_denorm_mode_32 3
		.amdhsa_float_denorm_mode_16_64 3
		.amdhsa_dx10_clamp 1
		.amdhsa_ieee_mode 1
		.amdhsa_fp16_overflow 0
		.amdhsa_tg_split 0
		.amdhsa_exception_fp_ieee_invalid_op 0
		.amdhsa_exception_fp_denorm_src 0
		.amdhsa_exception_fp_ieee_div_zero 0
		.amdhsa_exception_fp_ieee_overflow 0
		.amdhsa_exception_fp_ieee_underflow 0
		.amdhsa_exception_fp_ieee_inexact 0
		.amdhsa_exception_int_div_zero 0
	.end_amdhsa_kernel
	.section	.text._ZN9rocsolver6v33100L36nonunit_backward_substitution_kernelI19rocblas_complex_numIfEiPS3_EEvT0_S5_T1_S5_S5_llS6_S5_S5_ll,"axG",@progbits,_ZN9rocsolver6v33100L36nonunit_backward_substitution_kernelI19rocblas_complex_numIfEiPS3_EEvT0_S5_T1_S5_S5_llS6_S5_S5_ll,comdat
.Lfunc_end7:
	.size	_ZN9rocsolver6v33100L36nonunit_backward_substitution_kernelI19rocblas_complex_numIfEiPS3_EEvT0_S5_T1_S5_S5_llS6_S5_S5_ll, .Lfunc_end7-_ZN9rocsolver6v33100L36nonunit_backward_substitution_kernelI19rocblas_complex_numIfEiPS3_EEvT0_S5_T1_S5_S5_llS6_S5_S5_ll
                                        ; -- End function
	.section	.AMDGPU.csdata,"",@progbits
; Kernel info:
; codeLenInByte = 1404
; NumSgprs: 24
; NumVgprs: 18
; NumAgprs: 0
; TotalNumVgprs: 18
; ScratchSize: 0
; MemoryBound: 0
; FloatMode: 240
; IeeeMode: 1
; LDSByteSize: 0 bytes/workgroup (compile time only)
; SGPRBlocks: 2
; VGPRBlocks: 2
; NumSGPRsForWavesPerEU: 24
; NumVGPRsForWavesPerEU: 18
; AccumOffset: 20
; Occupancy: 8
; WaveLimiterHint : 0
; COMPUTE_PGM_RSRC2:SCRATCH_EN: 0
; COMPUTE_PGM_RSRC2:USER_SGPR: 6
; COMPUTE_PGM_RSRC2:TRAP_HANDLER: 0
; COMPUTE_PGM_RSRC2:TGID_X_EN: 1
; COMPUTE_PGM_RSRC2:TGID_Y_EN: 1
; COMPUTE_PGM_RSRC2:TGID_Z_EN: 1
; COMPUTE_PGM_RSRC2:TIDIG_COMP_CNT: 1
; COMPUTE_PGM_RSRC3_GFX90A:ACCUM_OFFSET: 4
; COMPUTE_PGM_RSRC3_GFX90A:TG_SPLIT: 0
	.section	.text._ZN9rocsolver6v33100L37conj_unit_forward_substitution_kernelI19rocblas_complex_numIfEiPKPS3_EEvT0_S7_T1_S7_S7_llS8_S7_S7_ll,"axG",@progbits,_ZN9rocsolver6v33100L37conj_unit_forward_substitution_kernelI19rocblas_complex_numIfEiPKPS3_EEvT0_S7_T1_S7_S7_llS8_S7_S7_ll,comdat
	.globl	_ZN9rocsolver6v33100L37conj_unit_forward_substitution_kernelI19rocblas_complex_numIfEiPKPS3_EEvT0_S7_T1_S7_S7_llS8_S7_S7_ll ; -- Begin function _ZN9rocsolver6v33100L37conj_unit_forward_substitution_kernelI19rocblas_complex_numIfEiPKPS3_EEvT0_S7_T1_S7_S7_llS8_S7_S7_ll
	.p2align	8
	.type	_ZN9rocsolver6v33100L37conj_unit_forward_substitution_kernelI19rocblas_complex_numIfEiPKPS3_EEvT0_S7_T1_S7_S7_llS8_S7_S7_ll,@function
_ZN9rocsolver6v33100L37conj_unit_forward_substitution_kernelI19rocblas_complex_numIfEiPKPS3_EEvT0_S7_T1_S7_S7_llS8_S7_S7_ll: ; @_ZN9rocsolver6v33100L37conj_unit_forward_substitution_kernelI19rocblas_complex_numIfEiPKPS3_EEvT0_S7_T1_S7_S7_llS8_S7_S7_ll
; %bb.0:
	s_load_dword s0, s[4:5], 0x54
	s_load_dwordx2 s[10:11], s[4:5], 0x0
	v_bfe_u32 v4, v0, 10, 10
	s_waitcnt lgkmcnt(0)
	s_lshr_b32 s0, s0, 16
	s_mul_i32 s7, s7, s0
	v_add_u32_e32 v1, s7, v4
	v_cmp_gt_i32_e32 vcc, s11, v1
	s_and_saveexec_b64 s[0:1], vcc
	s_cbranch_execz .LBB8_9
; %bb.1:
	s_load_dwordx4 s[0:3], s[4:5], 0x28
	s_load_dwordx2 s[12:13], s[4:5], 0x38
	s_ashr_i32 s9, s8, 31
	s_lshl_b64 s[6:7], s[8:9], 3
	v_and_b32_e32 v8, 0x3ff, v0
	s_waitcnt lgkmcnt(0)
	s_add_u32 s0, s0, s6
	s_addc_u32 s1, s1, s7
	s_load_dwordx2 s[0:1], s[0:1], 0x0
	v_mul_lo_u32 v0, v8, s2
	s_lshl_b64 s[8:9], s[12:13], 3
	v_mad_u64_u32 v[0:1], s[2:3], v1, s3, v[0:1]
	s_waitcnt lgkmcnt(0)
	s_add_u32 s0, s0, s8
	v_ashrrev_i32_e32 v1, 31, v0
	s_addc_u32 s1, s1, s9
	v_lshlrev_b64 v[0:1], 3, v[0:1]
	v_mov_b32_e32 v2, s1
	v_add_co_u32_e32 v0, vcc, s0, v0
	v_addc_co_u32_e32 v1, vcc, v2, v1, vcc
	global_load_dwordx2 v[2:3], v[0:1], off
	s_cmp_lt_i32 s10, 2
	s_cbranch_scc1 .LBB8_8
; %bb.2:
	s_load_dwordx4 s[0:3], s[4:5], 0x8
	s_load_dwordx2 s[8:9], s[4:5], 0x18
	v_lshl_add_u32 v9, v4, 3, 0
	s_mov_b32 s4, 0
	s_waitcnt lgkmcnt(0)
	s_add_u32 s0, s0, s6
	s_addc_u32 s1, s1, s7
	s_load_dwordx2 s[0:1], s[0:1], 0x0
	s_lshl_b64 s[6:7], s[8:9], 3
	v_mul_lo_u32 v4, v8, s2
	s_waitcnt lgkmcnt(0)
	s_add_u32 s2, s0, s6
	s_addc_u32 s5, s1, s7
	s_add_i32 s6, s10, -1
	s_branch .LBB8_4
.LBB8_3:                                ;   in Loop: Header=BB8_4 Depth=1
	s_or_b64 exec, exec, s[0:1]
	s_add_i32 s4, s4, 1
	s_waitcnt vmcnt(0)
	v_pk_add_f32 v[2:3], v[2:3], v[6:7] neg_lo:[0,1] neg_hi:[0,1]
	s_cmp_eq_u32 s6, s4
	v_add_u32_e32 v4, s3, v4
	s_cbranch_scc1 .LBB8_8
.LBB8_4:                                ; =>This Inner Loop Header: Depth=1
	v_cmp_eq_u32_e32 vcc, s4, v8
	s_barrier
	s_and_saveexec_b64 s[0:1], vcc
	s_cbranch_execz .LBB8_6
; %bb.5:                                ;   in Loop: Header=BB8_4 Depth=1
	s_waitcnt vmcnt(0)
	ds_write_b64 v9, v[2:3]
.LBB8_6:                                ;   in Loop: Header=BB8_4 Depth=1
	s_or_b64 exec, exec, s[0:1]
	v_cmp_lt_u32_e32 vcc, s4, v8
	v_mov_b32_e32 v6, 0
	v_mov_b32_e32 v7, 0
	s_waitcnt lgkmcnt(0)
	s_barrier
	s_and_saveexec_b64 s[0:1], vcc
	s_cbranch_execz .LBB8_3
; %bb.7:                                ;   in Loop: Header=BB8_4 Depth=1
	v_ashrrev_i32_e32 v5, 31, v4
	v_lshlrev_b64 v[6:7], 3, v[4:5]
	v_mov_b32_e32 v5, s5
	v_add_co_u32_e32 v6, vcc, s2, v6
	v_addc_co_u32_e32 v7, vcc, v5, v7, vcc
	global_load_dwordx2 v[6:7], v[6:7], off
	ds_read_b64 v[10:11], v9
	s_waitcnt vmcnt(0) lgkmcnt(0)
	v_pk_mul_f32 v[14:15], v[6:7], v[10:11] op_sel:[1,0]
	v_pk_mul_f32 v[12:13], v[6:7], v[10:11] op_sel_hi:[0,1]
	v_pk_fma_f32 v[6:7], v[6:7], v[10:11], v[14:15] op_sel:[0,0,1] op_sel_hi:[0,1,0] neg_lo:[0,0,1] neg_hi:[0,0,1]
	v_add_f32_e32 v6, v12, v15
	s_branch .LBB8_3
.LBB8_8:
	s_waitcnt vmcnt(0)
	global_store_dwordx2 v[0:1], v[2:3], off
.LBB8_9:
	s_endpgm
	.section	.rodata,"a",@progbits
	.p2align	6, 0x0
	.amdhsa_kernel _ZN9rocsolver6v33100L37conj_unit_forward_substitution_kernelI19rocblas_complex_numIfEiPKPS3_EEvT0_S7_T1_S7_S7_llS8_S7_S7_ll
		.amdhsa_group_segment_fixed_size 0
		.amdhsa_private_segment_fixed_size 0
		.amdhsa_kernarg_size 328
		.amdhsa_user_sgpr_count 6
		.amdhsa_user_sgpr_private_segment_buffer 1
		.amdhsa_user_sgpr_dispatch_ptr 0
		.amdhsa_user_sgpr_queue_ptr 0
		.amdhsa_user_sgpr_kernarg_segment_ptr 1
		.amdhsa_user_sgpr_dispatch_id 0
		.amdhsa_user_sgpr_flat_scratch_init 0
		.amdhsa_user_sgpr_kernarg_preload_length 0
		.amdhsa_user_sgpr_kernarg_preload_offset 0
		.amdhsa_user_sgpr_private_segment_size 0
		.amdhsa_uses_dynamic_stack 0
		.amdhsa_system_sgpr_private_segment_wavefront_offset 0
		.amdhsa_system_sgpr_workgroup_id_x 1
		.amdhsa_system_sgpr_workgroup_id_y 1
		.amdhsa_system_sgpr_workgroup_id_z 1
		.amdhsa_system_sgpr_workgroup_info 0
		.amdhsa_system_vgpr_workitem_id 1
		.amdhsa_next_free_vgpr 16
		.amdhsa_next_free_sgpr 14
		.amdhsa_accum_offset 16
		.amdhsa_reserve_vcc 1
		.amdhsa_reserve_flat_scratch 0
		.amdhsa_float_round_mode_32 0
		.amdhsa_float_round_mode_16_64 0
		.amdhsa_float_denorm_mode_32 3
		.amdhsa_float_denorm_mode_16_64 3
		.amdhsa_dx10_clamp 1
		.amdhsa_ieee_mode 1
		.amdhsa_fp16_overflow 0
		.amdhsa_tg_split 0
		.amdhsa_exception_fp_ieee_invalid_op 0
		.amdhsa_exception_fp_denorm_src 0
		.amdhsa_exception_fp_ieee_div_zero 0
		.amdhsa_exception_fp_ieee_overflow 0
		.amdhsa_exception_fp_ieee_underflow 0
		.amdhsa_exception_fp_ieee_inexact 0
		.amdhsa_exception_int_div_zero 0
	.end_amdhsa_kernel
	.section	.text._ZN9rocsolver6v33100L37conj_unit_forward_substitution_kernelI19rocblas_complex_numIfEiPKPS3_EEvT0_S7_T1_S7_S7_llS8_S7_S7_ll,"axG",@progbits,_ZN9rocsolver6v33100L37conj_unit_forward_substitution_kernelI19rocblas_complex_numIfEiPKPS3_EEvT0_S7_T1_S7_S7_llS8_S7_S7_ll,comdat
.Lfunc_end8:
	.size	_ZN9rocsolver6v33100L37conj_unit_forward_substitution_kernelI19rocblas_complex_numIfEiPKPS3_EEvT0_S7_T1_S7_S7_llS8_S7_S7_ll, .Lfunc_end8-_ZN9rocsolver6v33100L37conj_unit_forward_substitution_kernelI19rocblas_complex_numIfEiPKPS3_EEvT0_S7_T1_S7_S7_llS8_S7_S7_ll
                                        ; -- End function
	.section	.AMDGPU.csdata,"",@progbits
; Kernel info:
; codeLenInByte = 440
; NumSgprs: 18
; NumVgprs: 16
; NumAgprs: 0
; TotalNumVgprs: 16
; ScratchSize: 0
; MemoryBound: 0
; FloatMode: 240
; IeeeMode: 1
; LDSByteSize: 0 bytes/workgroup (compile time only)
; SGPRBlocks: 2
; VGPRBlocks: 1
; NumSGPRsForWavesPerEU: 18
; NumVGPRsForWavesPerEU: 16
; AccumOffset: 16
; Occupancy: 8
; WaveLimiterHint : 1
; COMPUTE_PGM_RSRC2:SCRATCH_EN: 0
; COMPUTE_PGM_RSRC2:USER_SGPR: 6
; COMPUTE_PGM_RSRC2:TRAP_HANDLER: 0
; COMPUTE_PGM_RSRC2:TGID_X_EN: 1
; COMPUTE_PGM_RSRC2:TGID_Y_EN: 1
; COMPUTE_PGM_RSRC2:TGID_Z_EN: 1
; COMPUTE_PGM_RSRC2:TIDIG_COMP_CNT: 1
; COMPUTE_PGM_RSRC3_GFX90A:ACCUM_OFFSET: 3
; COMPUTE_PGM_RSRC3_GFX90A:TG_SPLIT: 0
	.section	.text._ZN9rocsolver6v33100L40conj_nonunit_forward_substitution_kernelI19rocblas_complex_numIfEiPKPS3_EEvT0_S7_T1_S7_S7_llS8_S7_S7_ll,"axG",@progbits,_ZN9rocsolver6v33100L40conj_nonunit_forward_substitution_kernelI19rocblas_complex_numIfEiPKPS3_EEvT0_S7_T1_S7_S7_llS8_S7_S7_ll,comdat
	.globl	_ZN9rocsolver6v33100L40conj_nonunit_forward_substitution_kernelI19rocblas_complex_numIfEiPKPS3_EEvT0_S7_T1_S7_S7_llS8_S7_S7_ll ; -- Begin function _ZN9rocsolver6v33100L40conj_nonunit_forward_substitution_kernelI19rocblas_complex_numIfEiPKPS3_EEvT0_S7_T1_S7_S7_llS8_S7_S7_ll
	.p2align	8
	.type	_ZN9rocsolver6v33100L40conj_nonunit_forward_substitution_kernelI19rocblas_complex_numIfEiPKPS3_EEvT0_S7_T1_S7_S7_llS8_S7_S7_ll,@function
_ZN9rocsolver6v33100L40conj_nonunit_forward_substitution_kernelI19rocblas_complex_numIfEiPKPS3_EEvT0_S7_T1_S7_S7_llS8_S7_S7_ll: ; @_ZN9rocsolver6v33100L40conj_nonunit_forward_substitution_kernelI19rocblas_complex_numIfEiPKPS3_EEvT0_S7_T1_S7_S7_llS8_S7_S7_ll
; %bb.0:
	s_load_dword s0, s[4:5], 0x54
	s_load_dwordx2 s[10:11], s[4:5], 0x0
	v_bfe_u32 v5, v0, 10, 10
	s_waitcnt lgkmcnt(0)
	s_lshr_b32 s0, s0, 16
	s_mul_i32 s7, s7, s0
	v_add_u32_e32 v1, s7, v5
	v_cmp_gt_i32_e32 vcc, s11, v1
	s_and_saveexec_b64 s[0:1], vcc
	s_cbranch_execz .LBB9_19
; %bb.1:
	s_load_dwordx4 s[0:3], s[4:5], 0x8
	s_load_dwordx2 s[6:7], s[4:5], 0x18
	s_ashr_i32 s9, s8, 31
	s_lshl_b64 s[8:9], s[8:9], 3
	s_load_dwordx4 s[12:15], s[4:5], 0x28
	s_waitcnt lgkmcnt(0)
	s_add_u32 s0, s0, s8
	s_addc_u32 s1, s1, s9
	s_load_dwordx2 s[16:17], s[0:1], 0x0
	s_load_dwordx2 s[18:19], s[4:5], 0x38
	s_lshl_b64 s[0:1], s[6:7], 3
	v_and_b32_e32 v10, 0x3ff, v0
	v_mul_lo_u32 v0, v10, s14
	s_waitcnt lgkmcnt(0)
	s_add_u32 s6, s16, s0
	s_addc_u32 s7, s17, s1
	s_add_u32 s0, s12, s8
	s_addc_u32 s1, s13, s9
	s_load_dwordx2 s[0:1], s[0:1], 0x0
	v_mad_u64_u32 v[0:1], s[4:5], v1, s15, v[0:1]
	s_lshl_b64 s[4:5], s[18:19], 3
	v_ashrrev_i32_e32 v1, 31, v0
	s_waitcnt lgkmcnt(0)
	s_add_u32 s0, s0, s4
	s_addc_u32 s1, s1, s5
	v_lshlrev_b64 v[0:1], 3, v[0:1]
	v_mov_b32_e32 v2, s1
	v_add_co_u32_e32 v0, vcc, s0, v0
	v_addc_co_u32_e32 v1, vcc, v2, v1, vcc
	global_load_dwordx2 v[2:3], v[0:1], off
	s_add_i32 s8, s10, -1
	s_cmp_lt_i32 s10, 2
	s_cbranch_scc1 .LBB9_12
; %bb.2:
	s_add_i32 s0, s3, s2
	v_mul_lo_u32 v6, s0, v10
	v_ashrrev_i32_e32 v7, 31, v6
	v_lshlrev_b64 v[6:7], 3, v[6:7]
	v_mov_b32_e32 v8, s7
	v_add_co_u32_e32 v6, vcc, s6, v6
	v_mul_lo_u32 v4, v10, s2
	v_addc_co_u32_e32 v7, vcc, v8, v7, vcc
	s_mov_b32 s9, 0
	v_lshl_add_u32 v11, v5, 3, 0
	s_branch .LBB9_4
.LBB9_3:                                ;   in Loop: Header=BB9_4 Depth=1
	s_or_b64 exec, exec, s[0:1]
	s_add_i32 s9, s9, 1
	s_waitcnt vmcnt(0)
	v_pk_add_f32 v[2:3], v[2:3], v[8:9] neg_lo:[0,1] neg_hi:[0,1]
	s_cmp_eq_u32 s8, s9
	v_add_u32_e32 v4, s3, v4
	s_cbranch_scc1 .LBB9_12
.LBB9_4:                                ; =>This Inner Loop Header: Depth=1
	v_cmp_eq_u32_e32 vcc, s9, v10
	s_barrier
	s_and_saveexec_b64 s[0:1], vcc
	s_cbranch_execz .LBB9_10
; %bb.5:                                ;   in Loop: Header=BB9_4 Depth=1
	global_load_dwordx2 v[8:9], v[6:7], off
	s_waitcnt vmcnt(0)
	v_cmp_gt_f32_e32 vcc, 0, v8
	v_cndmask_b32_e64 v5, v8, -v8, vcc
	v_cmp_lt_f32_e32 vcc, 0, v9
	v_cndmask_b32_e64 v12, -v9, v9, vcc
	v_cmp_ngt_f32_e32 vcc, v5, v12
	s_and_saveexec_b64 s[4:5], vcc
	s_xor_b64 s[4:5], exec, s[4:5]
	s_cbranch_execz .LBB9_7
; %bb.6:                                ;   in Loop: Header=BB9_4 Depth=1
	v_div_scale_f32 v5, s[10:11], -v9, -v9, v8
	v_rcp_f32_e32 v12, v5
	v_div_scale_f32 v13, vcc, v8, -v9, v8
	v_fma_f32 v14, -v5, v12, 1.0
	v_fmac_f32_e32 v12, v14, v12
	v_mul_f32_e32 v14, v13, v12
	v_fma_f32 v15, -v5, v14, v13
	v_fmac_f32_e32 v14, v15, v12
	v_fma_f32 v5, -v5, v14, v13
	v_div_fmas_f32 v5, v5, v12, v14
	v_div_fixup_f32 v5, v5, -v9, v8
	v_fma_f32 v8, v8, v5, -v9
	v_div_scale_f32 v9, s[10:11], v8, v8, 1.0
	v_rcp_f32_e32 v12, v9
	v_fma_f32 v13, -v9, v12, 1.0
	v_fmac_f32_e32 v12, v13, v12
	v_div_scale_f32 v13, vcc, 1.0, v8, 1.0
	v_mul_f32_e32 v14, v13, v12
	v_fma_f32 v15, -v9, v14, v13
	v_fmac_f32_e32 v14, v15, v12
	v_fma_f32 v9, -v9, v14, v13
	v_div_fmas_f32 v9, v9, v12, v14
	v_div_fixup_f32 v9, v9, v8, 1.0
	v_fma_f32 v8, v2, v5, v3
	v_fma_f32 v3, v3, v5, -v2
	v_mov_b32_e32 v2, v9
	v_pk_mul_f32 v[2:3], v[8:9], v[2:3]
                                        ; implicit-def: $vgpr8_vgpr9
.LBB9_7:                                ;   in Loop: Header=BB9_4 Depth=1
	s_andn2_saveexec_b64 s[4:5], s[4:5]
	s_cbranch_execz .LBB9_9
; %bb.8:                                ;   in Loop: Header=BB9_4 Depth=1
	v_div_scale_f32 v5, s[10:11], v8, v8, -v9
	v_rcp_f32_e32 v12, v5
	v_div_scale_f32 v13, vcc, -v9, v8, -v9
	v_fma_f32 v14, -v5, v12, 1.0
	v_fmac_f32_e32 v12, v14, v12
	v_mul_f32_e32 v14, v13, v12
	v_fma_f32 v15, -v5, v14, v13
	v_fmac_f32_e32 v14, v15, v12
	v_fma_f32 v5, -v5, v14, v13
	v_div_fmas_f32 v5, v5, v12, v14
	v_div_fixup_f32 v12, v5, v8, -v9
	v_fma_f32 v5, -v9, v12, v8
	v_div_scale_f32 v8, s[10:11], v5, v5, 1.0
	v_rcp_f32_e32 v9, v8
	v_fma_f32 v13, -v8, v9, 1.0
	v_fmac_f32_e32 v9, v13, v9
	v_div_scale_f32 v13, vcc, 1.0, v5, 1.0
	v_mul_f32_e32 v14, v13, v9
	v_fma_f32 v15, -v8, v14, v13
	v_fmac_f32_e32 v14, v15, v9
	v_fma_f32 v8, -v8, v14, v13
	v_pk_mul_f32 v[12:13], v[2:3], v[12:13] op_sel_hi:[1,0]
	v_div_fmas_f32 v8, v8, v9, v14
	v_pk_add_f32 v[14:15], v[2:3], v[12:13] op_sel:[0,1] op_sel_hi:[1,0]
	v_pk_add_f32 v[2:3], v[2:3], v[12:13] op_sel:[0,1] op_sel_hi:[1,0] neg_lo:[0,1] neg_hi:[0,1]
	v_div_fixup_f32 v8, v8, v5, 1.0
	v_mov_b32_e32 v15, v3
	v_pk_mul_f32 v[2:3], v[14:15], v[8:9] op_sel_hi:[1,0]
.LBB9_9:                                ;   in Loop: Header=BB9_4 Depth=1
	s_or_b64 exec, exec, s[4:5]
	ds_write_b64 v11, v[2:3]
.LBB9_10:                               ;   in Loop: Header=BB9_4 Depth=1
	s_or_b64 exec, exec, s[0:1]
	v_mov_b32_e32 v8, 0
	v_cmp_lt_u32_e32 vcc, s9, v10
	v_mov_b32_e32 v9, v8
	s_waitcnt lgkmcnt(0)
	s_barrier
	s_and_saveexec_b64 s[0:1], vcc
	s_cbranch_execz .LBB9_3
; %bb.11:                               ;   in Loop: Header=BB9_4 Depth=1
	v_ashrrev_i32_e32 v5, 31, v4
	v_lshlrev_b64 v[8:9], 3, v[4:5]
	v_mov_b32_e32 v5, s7
	v_add_co_u32_e32 v8, vcc, s6, v8
	v_addc_co_u32_e32 v9, vcc, v5, v9, vcc
	global_load_dwordx2 v[8:9], v[8:9], off
	ds_read_b64 v[12:13], v11
	s_waitcnt vmcnt(0) lgkmcnt(0)
	v_pk_mul_f32 v[16:17], v[8:9], v[12:13] op_sel:[1,0]
	v_pk_mul_f32 v[14:15], v[8:9], v[12:13] op_sel_hi:[0,1]
	v_pk_fma_f32 v[8:9], v[8:9], v[12:13], v[16:17] op_sel:[0,0,1] op_sel_hi:[0,1,0] neg_lo:[0,0,1] neg_hi:[0,0,1]
	v_add_f32_e32 v8, v14, v17
	s_branch .LBB9_3
.LBB9_12:
	v_cmp_eq_u32_e32 vcc, s8, v10
	s_and_saveexec_b64 s[0:1], vcc
	s_cbranch_execz .LBB9_18
; %bb.13:
	s_add_i32 s2, s3, s2
	v_mul_lo_u32 v4, s2, v10
	v_ashrrev_i32_e32 v5, 31, v4
	v_lshlrev_b64 v[4:5], 3, v[4:5]
	v_mov_b32_e32 v6, s7
	v_add_co_u32_e32 v4, vcc, s6, v4
	v_addc_co_u32_e32 v5, vcc, v6, v5, vcc
	global_load_dwordx2 v[4:5], v[4:5], off
	s_waitcnt vmcnt(0)
	v_cmp_gt_f32_e32 vcc, 0, v4
	v_cndmask_b32_e64 v6, v4, -v4, vcc
	v_cmp_lt_f32_e32 vcc, 0, v5
	v_cndmask_b32_e64 v7, -v5, v5, vcc
	v_cmp_ngt_f32_e32 vcc, v6, v7
	s_and_saveexec_b64 s[2:3], vcc
	s_xor_b64 s[2:3], exec, s[2:3]
	s_cbranch_execz .LBB9_15
; %bb.14:
	v_div_scale_f32 v6, s[4:5], -v5, -v5, v4
	v_rcp_f32_e32 v7, v6
	v_div_scale_f32 v8, vcc, v4, -v5, v4
	v_fma_f32 v9, -v6, v7, 1.0
	v_fmac_f32_e32 v7, v9, v7
	v_mul_f32_e32 v9, v8, v7
	v_fma_f32 v10, -v6, v9, v8
	v_fmac_f32_e32 v9, v10, v7
	v_fma_f32 v6, -v6, v9, v8
	v_div_fmas_f32 v6, v6, v7, v9
	v_div_fixup_f32 v6, v6, -v5, v4
	v_fma_f32 v4, v4, v6, -v5
	v_div_scale_f32 v5, s[4:5], v4, v4, 1.0
	v_rcp_f32_e32 v7, v5
	v_fma_f32 v8, -v5, v7, 1.0
	v_fmac_f32_e32 v7, v8, v7
	v_div_scale_f32 v8, vcc, 1.0, v4, 1.0
	v_mul_f32_e32 v9, v8, v7
	v_fma_f32 v10, -v5, v9, v8
	v_fmac_f32_e32 v9, v10, v7
	v_fma_f32 v5, -v5, v9, v8
	v_div_fmas_f32 v5, v5, v7, v9
	v_div_fixup_f32 v5, v5, v4, 1.0
	v_fma_f32 v4, v2, v6, v3
	v_fma_f32 v3, v3, v6, -v2
	v_mov_b32_e32 v2, v5
	v_pk_mul_f32 v[2:3], v[4:5], v[2:3]
                                        ; implicit-def: $vgpr4_vgpr5
.LBB9_15:
	s_andn2_saveexec_b64 s[2:3], s[2:3]
	s_cbranch_execz .LBB9_17
; %bb.16:
	v_div_scale_f32 v6, s[4:5], v4, v4, -v5
	v_rcp_f32_e32 v7, v6
	v_div_scale_f32 v8, vcc, -v5, v4, -v5
	v_fma_f32 v9, -v6, v7, 1.0
	v_fmac_f32_e32 v7, v9, v7
	v_mul_f32_e32 v9, v8, v7
	v_fma_f32 v10, -v6, v9, v8
	v_fmac_f32_e32 v9, v10, v7
	v_fma_f32 v6, -v6, v9, v8
	v_div_fmas_f32 v6, v6, v7, v9
	v_div_fixup_f32 v6, v6, v4, -v5
	v_fma_f32 v4, -v5, v6, v4
	v_div_scale_f32 v5, s[4:5], v4, v4, 1.0
	v_rcp_f32_e32 v7, v5
	v_fma_f32 v8, -v5, v7, 1.0
	v_fmac_f32_e32 v7, v8, v7
	v_div_scale_f32 v8, vcc, 1.0, v4, 1.0
	v_mul_f32_e32 v9, v8, v7
	v_fma_f32 v10, -v5, v9, v8
	v_fmac_f32_e32 v9, v10, v7
	v_fma_f32 v5, -v5, v9, v8
	v_div_fmas_f32 v5, v5, v7, v9
	v_pk_mul_f32 v[6:7], v[2:3], v[6:7] op_sel_hi:[1,0]
	v_pk_add_f32 v[8:9], v[2:3], v[6:7] op_sel:[0,1] op_sel_hi:[1,0]
	v_pk_add_f32 v[2:3], v[2:3], v[6:7] op_sel:[0,1] op_sel_hi:[1,0] neg_lo:[0,1] neg_hi:[0,1]
	v_div_fixup_f32 v4, v5, v4, 1.0
	v_mov_b32_e32 v9, v3
	v_pk_mul_f32 v[2:3], v[8:9], v[4:5] op_sel_hi:[1,0]
.LBB9_17:
	s_or_b64 exec, exec, s[2:3]
.LBB9_18:
	s_or_b64 exec, exec, s[0:1]
	s_waitcnt vmcnt(0)
	global_store_dwordx2 v[0:1], v[2:3], off
.LBB9_19:
	s_endpgm
	.section	.rodata,"a",@progbits
	.p2align	6, 0x0
	.amdhsa_kernel _ZN9rocsolver6v33100L40conj_nonunit_forward_substitution_kernelI19rocblas_complex_numIfEiPKPS3_EEvT0_S7_T1_S7_S7_llS8_S7_S7_ll
		.amdhsa_group_segment_fixed_size 0
		.amdhsa_private_segment_fixed_size 0
		.amdhsa_kernarg_size 328
		.amdhsa_user_sgpr_count 6
		.amdhsa_user_sgpr_private_segment_buffer 1
		.amdhsa_user_sgpr_dispatch_ptr 0
		.amdhsa_user_sgpr_queue_ptr 0
		.amdhsa_user_sgpr_kernarg_segment_ptr 1
		.amdhsa_user_sgpr_dispatch_id 0
		.amdhsa_user_sgpr_flat_scratch_init 0
		.amdhsa_user_sgpr_kernarg_preload_length 0
		.amdhsa_user_sgpr_kernarg_preload_offset 0
		.amdhsa_user_sgpr_private_segment_size 0
		.amdhsa_uses_dynamic_stack 0
		.amdhsa_system_sgpr_private_segment_wavefront_offset 0
		.amdhsa_system_sgpr_workgroup_id_x 1
		.amdhsa_system_sgpr_workgroup_id_y 1
		.amdhsa_system_sgpr_workgroup_id_z 1
		.amdhsa_system_sgpr_workgroup_info 0
		.amdhsa_system_vgpr_workitem_id 1
		.amdhsa_next_free_vgpr 18
		.amdhsa_next_free_sgpr 20
		.amdhsa_accum_offset 20
		.amdhsa_reserve_vcc 1
		.amdhsa_reserve_flat_scratch 0
		.amdhsa_float_round_mode_32 0
		.amdhsa_float_round_mode_16_64 0
		.amdhsa_float_denorm_mode_32 3
		.amdhsa_float_denorm_mode_16_64 3
		.amdhsa_dx10_clamp 1
		.amdhsa_ieee_mode 1
		.amdhsa_fp16_overflow 0
		.amdhsa_tg_split 0
		.amdhsa_exception_fp_ieee_invalid_op 0
		.amdhsa_exception_fp_denorm_src 0
		.amdhsa_exception_fp_ieee_div_zero 0
		.amdhsa_exception_fp_ieee_overflow 0
		.amdhsa_exception_fp_ieee_underflow 0
		.amdhsa_exception_fp_ieee_inexact 0
		.amdhsa_exception_int_div_zero 0
	.end_amdhsa_kernel
	.section	.text._ZN9rocsolver6v33100L40conj_nonunit_forward_substitution_kernelI19rocblas_complex_numIfEiPKPS3_EEvT0_S7_T1_S7_S7_llS8_S7_S7_ll,"axG",@progbits,_ZN9rocsolver6v33100L40conj_nonunit_forward_substitution_kernelI19rocblas_complex_numIfEiPKPS3_EEvT0_S7_T1_S7_S7_llS8_S7_S7_ll,comdat
.Lfunc_end9:
	.size	_ZN9rocsolver6v33100L40conj_nonunit_forward_substitution_kernelI19rocblas_complex_numIfEiPKPS3_EEvT0_S7_T1_S7_S7_llS8_S7_S7_ll, .Lfunc_end9-_ZN9rocsolver6v33100L40conj_nonunit_forward_substitution_kernelI19rocblas_complex_numIfEiPKPS3_EEvT0_S7_T1_S7_S7_llS8_S7_S7_ll
                                        ; -- End function
	.section	.AMDGPU.csdata,"",@progbits
; Kernel info:
; codeLenInByte = 1384
; NumSgprs: 24
; NumVgprs: 18
; NumAgprs: 0
; TotalNumVgprs: 18
; ScratchSize: 0
; MemoryBound: 0
; FloatMode: 240
; IeeeMode: 1
; LDSByteSize: 0 bytes/workgroup (compile time only)
; SGPRBlocks: 2
; VGPRBlocks: 2
; NumSGPRsForWavesPerEU: 24
; NumVGPRsForWavesPerEU: 18
; AccumOffset: 20
; Occupancy: 8
; WaveLimiterHint : 1
; COMPUTE_PGM_RSRC2:SCRATCH_EN: 0
; COMPUTE_PGM_RSRC2:USER_SGPR: 6
; COMPUTE_PGM_RSRC2:TRAP_HANDLER: 0
; COMPUTE_PGM_RSRC2:TGID_X_EN: 1
; COMPUTE_PGM_RSRC2:TGID_Y_EN: 1
; COMPUTE_PGM_RSRC2:TGID_Z_EN: 1
; COMPUTE_PGM_RSRC2:TIDIG_COMP_CNT: 1
; COMPUTE_PGM_RSRC3_GFX90A:ACCUM_OFFSET: 4
; COMPUTE_PGM_RSRC3_GFX90A:TG_SPLIT: 0
	.section	.text._ZN9rocsolver6v33100L32unit_forward_substitution_kernelI19rocblas_complex_numIfEiPKPS3_EEvT0_S7_T1_S7_S7_llS8_S7_S7_ll,"axG",@progbits,_ZN9rocsolver6v33100L32unit_forward_substitution_kernelI19rocblas_complex_numIfEiPKPS3_EEvT0_S7_T1_S7_S7_llS8_S7_S7_ll,comdat
	.globl	_ZN9rocsolver6v33100L32unit_forward_substitution_kernelI19rocblas_complex_numIfEiPKPS3_EEvT0_S7_T1_S7_S7_llS8_S7_S7_ll ; -- Begin function _ZN9rocsolver6v33100L32unit_forward_substitution_kernelI19rocblas_complex_numIfEiPKPS3_EEvT0_S7_T1_S7_S7_llS8_S7_S7_ll
	.p2align	8
	.type	_ZN9rocsolver6v33100L32unit_forward_substitution_kernelI19rocblas_complex_numIfEiPKPS3_EEvT0_S7_T1_S7_S7_llS8_S7_S7_ll,@function
_ZN9rocsolver6v33100L32unit_forward_substitution_kernelI19rocblas_complex_numIfEiPKPS3_EEvT0_S7_T1_S7_S7_llS8_S7_S7_ll: ; @_ZN9rocsolver6v33100L32unit_forward_substitution_kernelI19rocblas_complex_numIfEiPKPS3_EEvT0_S7_T1_S7_S7_llS8_S7_S7_ll
; %bb.0:
	s_load_dword s0, s[4:5], 0x54
	s_load_dwordx2 s[10:11], s[4:5], 0x0
	v_bfe_u32 v4, v0, 10, 10
	s_waitcnt lgkmcnt(0)
	s_lshr_b32 s0, s0, 16
	s_mul_i32 s7, s7, s0
	v_add_u32_e32 v1, s7, v4
	v_cmp_gt_i32_e32 vcc, s11, v1
	s_and_saveexec_b64 s[0:1], vcc
	s_cbranch_execz .LBB10_9
; %bb.1:
	s_load_dwordx4 s[0:3], s[4:5], 0x28
	s_load_dwordx2 s[12:13], s[4:5], 0x38
	s_ashr_i32 s9, s8, 31
	s_lshl_b64 s[6:7], s[8:9], 3
	v_and_b32_e32 v8, 0x3ff, v0
	s_waitcnt lgkmcnt(0)
	s_add_u32 s0, s0, s6
	s_addc_u32 s1, s1, s7
	s_load_dwordx2 s[0:1], s[0:1], 0x0
	v_mul_lo_u32 v0, v8, s2
	s_lshl_b64 s[8:9], s[12:13], 3
	v_mad_u64_u32 v[0:1], s[2:3], v1, s3, v[0:1]
	s_waitcnt lgkmcnt(0)
	s_add_u32 s0, s0, s8
	v_ashrrev_i32_e32 v1, 31, v0
	s_addc_u32 s1, s1, s9
	v_lshlrev_b64 v[0:1], 3, v[0:1]
	v_mov_b32_e32 v2, s1
	v_add_co_u32_e32 v0, vcc, s0, v0
	v_addc_co_u32_e32 v1, vcc, v2, v1, vcc
	global_load_dwordx2 v[2:3], v[0:1], off
	s_cmp_lt_i32 s10, 2
	s_cbranch_scc1 .LBB10_8
; %bb.2:
	s_load_dwordx4 s[0:3], s[4:5], 0x8
	s_load_dwordx2 s[8:9], s[4:5], 0x18
	v_lshl_add_u32 v9, v4, 3, 0
	s_mov_b32 s4, 0
	s_waitcnt lgkmcnt(0)
	s_add_u32 s0, s0, s6
	s_addc_u32 s1, s1, s7
	s_load_dwordx2 s[0:1], s[0:1], 0x0
	s_lshl_b64 s[6:7], s[8:9], 3
	v_mul_lo_u32 v4, v8, s2
	s_waitcnt lgkmcnt(0)
	s_add_u32 s2, s0, s6
	s_addc_u32 s5, s1, s7
	s_add_i32 s6, s10, -1
	s_branch .LBB10_4
.LBB10_3:                               ;   in Loop: Header=BB10_4 Depth=1
	s_or_b64 exec, exec, s[0:1]
	s_add_i32 s4, s4, 1
	s_waitcnt vmcnt(0)
	v_pk_add_f32 v[2:3], v[2:3], v[6:7] neg_lo:[0,1] neg_hi:[0,1]
	s_cmp_eq_u32 s6, s4
	v_add_u32_e32 v4, s3, v4
	s_cbranch_scc1 .LBB10_8
.LBB10_4:                               ; =>This Inner Loop Header: Depth=1
	v_cmp_eq_u32_e32 vcc, s4, v8
	s_barrier
	s_and_saveexec_b64 s[0:1], vcc
	s_cbranch_execz .LBB10_6
; %bb.5:                                ;   in Loop: Header=BB10_4 Depth=1
	s_waitcnt vmcnt(0)
	ds_write_b64 v9, v[2:3]
.LBB10_6:                               ;   in Loop: Header=BB10_4 Depth=1
	s_or_b64 exec, exec, s[0:1]
	v_cmp_lt_u32_e32 vcc, s4, v8
	v_mov_b32_e32 v6, 0
	v_mov_b32_e32 v7, 0
	s_waitcnt lgkmcnt(0)
	s_barrier
	s_and_saveexec_b64 s[0:1], vcc
	s_cbranch_execz .LBB10_3
; %bb.7:                                ;   in Loop: Header=BB10_4 Depth=1
	v_ashrrev_i32_e32 v5, 31, v4
	v_lshlrev_b64 v[6:7], 3, v[4:5]
	v_mov_b32_e32 v5, s5
	v_add_co_u32_e32 v6, vcc, s2, v6
	v_addc_co_u32_e32 v7, vcc, v5, v7, vcc
	global_load_dwordx2 v[6:7], v[6:7], off
	ds_read_b64 v[10:11], v9
	s_waitcnt vmcnt(0) lgkmcnt(0)
	v_pk_mul_f32 v[12:13], v[10:11], v[6:7] op_sel:[0,1]
	v_pk_mul_f32 v[14:15], v[10:11], v[6:7] op_sel_hi:[1,0]
	v_pk_fma_f32 v[6:7], v[10:11], v[6:7], v[12:13] op_sel:[0,0,1] op_sel_hi:[1,0,0]
	v_sub_f32_e32 v6, v14, v13
	s_branch .LBB10_3
.LBB10_8:
	s_waitcnt vmcnt(0)
	global_store_dwordx2 v[0:1], v[2:3], off
.LBB10_9:
	s_endpgm
	.section	.rodata,"a",@progbits
	.p2align	6, 0x0
	.amdhsa_kernel _ZN9rocsolver6v33100L32unit_forward_substitution_kernelI19rocblas_complex_numIfEiPKPS3_EEvT0_S7_T1_S7_S7_llS8_S7_S7_ll
		.amdhsa_group_segment_fixed_size 0
		.amdhsa_private_segment_fixed_size 0
		.amdhsa_kernarg_size 328
		.amdhsa_user_sgpr_count 6
		.amdhsa_user_sgpr_private_segment_buffer 1
		.amdhsa_user_sgpr_dispatch_ptr 0
		.amdhsa_user_sgpr_queue_ptr 0
		.amdhsa_user_sgpr_kernarg_segment_ptr 1
		.amdhsa_user_sgpr_dispatch_id 0
		.amdhsa_user_sgpr_flat_scratch_init 0
		.amdhsa_user_sgpr_kernarg_preload_length 0
		.amdhsa_user_sgpr_kernarg_preload_offset 0
		.amdhsa_user_sgpr_private_segment_size 0
		.amdhsa_uses_dynamic_stack 0
		.amdhsa_system_sgpr_private_segment_wavefront_offset 0
		.amdhsa_system_sgpr_workgroup_id_x 1
		.amdhsa_system_sgpr_workgroup_id_y 1
		.amdhsa_system_sgpr_workgroup_id_z 1
		.amdhsa_system_sgpr_workgroup_info 0
		.amdhsa_system_vgpr_workitem_id 1
		.amdhsa_next_free_vgpr 16
		.amdhsa_next_free_sgpr 14
		.amdhsa_accum_offset 16
		.amdhsa_reserve_vcc 1
		.amdhsa_reserve_flat_scratch 0
		.amdhsa_float_round_mode_32 0
		.amdhsa_float_round_mode_16_64 0
		.amdhsa_float_denorm_mode_32 3
		.amdhsa_float_denorm_mode_16_64 3
		.amdhsa_dx10_clamp 1
		.amdhsa_ieee_mode 1
		.amdhsa_fp16_overflow 0
		.amdhsa_tg_split 0
		.amdhsa_exception_fp_ieee_invalid_op 0
		.amdhsa_exception_fp_denorm_src 0
		.amdhsa_exception_fp_ieee_div_zero 0
		.amdhsa_exception_fp_ieee_overflow 0
		.amdhsa_exception_fp_ieee_underflow 0
		.amdhsa_exception_fp_ieee_inexact 0
		.amdhsa_exception_int_div_zero 0
	.end_amdhsa_kernel
	.section	.text._ZN9rocsolver6v33100L32unit_forward_substitution_kernelI19rocblas_complex_numIfEiPKPS3_EEvT0_S7_T1_S7_S7_llS8_S7_S7_ll,"axG",@progbits,_ZN9rocsolver6v33100L32unit_forward_substitution_kernelI19rocblas_complex_numIfEiPKPS3_EEvT0_S7_T1_S7_S7_llS8_S7_S7_ll,comdat
.Lfunc_end10:
	.size	_ZN9rocsolver6v33100L32unit_forward_substitution_kernelI19rocblas_complex_numIfEiPKPS3_EEvT0_S7_T1_S7_S7_llS8_S7_S7_ll, .Lfunc_end10-_ZN9rocsolver6v33100L32unit_forward_substitution_kernelI19rocblas_complex_numIfEiPKPS3_EEvT0_S7_T1_S7_S7_llS8_S7_S7_ll
                                        ; -- End function
	.section	.AMDGPU.csdata,"",@progbits
; Kernel info:
; codeLenInByte = 440
; NumSgprs: 18
; NumVgprs: 16
; NumAgprs: 0
; TotalNumVgprs: 16
; ScratchSize: 0
; MemoryBound: 0
; FloatMode: 240
; IeeeMode: 1
; LDSByteSize: 0 bytes/workgroup (compile time only)
; SGPRBlocks: 2
; VGPRBlocks: 1
; NumSGPRsForWavesPerEU: 18
; NumVGPRsForWavesPerEU: 16
; AccumOffset: 16
; Occupancy: 8
; WaveLimiterHint : 1
; COMPUTE_PGM_RSRC2:SCRATCH_EN: 0
; COMPUTE_PGM_RSRC2:USER_SGPR: 6
; COMPUTE_PGM_RSRC2:TRAP_HANDLER: 0
; COMPUTE_PGM_RSRC2:TGID_X_EN: 1
; COMPUTE_PGM_RSRC2:TGID_Y_EN: 1
; COMPUTE_PGM_RSRC2:TGID_Z_EN: 1
; COMPUTE_PGM_RSRC2:TIDIG_COMP_CNT: 1
; COMPUTE_PGM_RSRC3_GFX90A:ACCUM_OFFSET: 3
; COMPUTE_PGM_RSRC3_GFX90A:TG_SPLIT: 0
	.section	.text._ZN9rocsolver6v33100L35nonunit_forward_substitution_kernelI19rocblas_complex_numIfEiPKPS3_EEvT0_S7_T1_S7_S7_llS8_S7_S7_ll,"axG",@progbits,_ZN9rocsolver6v33100L35nonunit_forward_substitution_kernelI19rocblas_complex_numIfEiPKPS3_EEvT0_S7_T1_S7_S7_llS8_S7_S7_ll,comdat
	.globl	_ZN9rocsolver6v33100L35nonunit_forward_substitution_kernelI19rocblas_complex_numIfEiPKPS3_EEvT0_S7_T1_S7_S7_llS8_S7_S7_ll ; -- Begin function _ZN9rocsolver6v33100L35nonunit_forward_substitution_kernelI19rocblas_complex_numIfEiPKPS3_EEvT0_S7_T1_S7_S7_llS8_S7_S7_ll
	.p2align	8
	.type	_ZN9rocsolver6v33100L35nonunit_forward_substitution_kernelI19rocblas_complex_numIfEiPKPS3_EEvT0_S7_T1_S7_S7_llS8_S7_S7_ll,@function
_ZN9rocsolver6v33100L35nonunit_forward_substitution_kernelI19rocblas_complex_numIfEiPKPS3_EEvT0_S7_T1_S7_S7_llS8_S7_S7_ll: ; @_ZN9rocsolver6v33100L35nonunit_forward_substitution_kernelI19rocblas_complex_numIfEiPKPS3_EEvT0_S7_T1_S7_S7_llS8_S7_S7_ll
; %bb.0:
	s_load_dword s0, s[4:5], 0x54
	s_load_dwordx2 s[10:11], s[4:5], 0x0
	v_bfe_u32 v5, v0, 10, 10
	s_waitcnt lgkmcnt(0)
	s_lshr_b32 s0, s0, 16
	s_mul_i32 s7, s7, s0
	v_add_u32_e32 v1, s7, v5
	v_cmp_gt_i32_e32 vcc, s11, v1
	s_and_saveexec_b64 s[0:1], vcc
	s_cbranch_execz .LBB11_19
; %bb.1:
	s_load_dwordx4 s[0:3], s[4:5], 0x8
	s_load_dwordx2 s[6:7], s[4:5], 0x18
	s_ashr_i32 s9, s8, 31
	s_lshl_b64 s[8:9], s[8:9], 3
	s_load_dwordx4 s[12:15], s[4:5], 0x28
	s_waitcnt lgkmcnt(0)
	s_add_u32 s0, s0, s8
	s_addc_u32 s1, s1, s9
	s_load_dwordx2 s[16:17], s[0:1], 0x0
	s_load_dwordx2 s[18:19], s[4:5], 0x38
	s_lshl_b64 s[0:1], s[6:7], 3
	v_and_b32_e32 v10, 0x3ff, v0
	v_mul_lo_u32 v0, v10, s14
	s_waitcnt lgkmcnt(0)
	s_add_u32 s6, s16, s0
	s_addc_u32 s7, s17, s1
	s_add_u32 s0, s12, s8
	s_addc_u32 s1, s13, s9
	s_load_dwordx2 s[0:1], s[0:1], 0x0
	v_mad_u64_u32 v[0:1], s[4:5], v1, s15, v[0:1]
	s_lshl_b64 s[4:5], s[18:19], 3
	v_ashrrev_i32_e32 v1, 31, v0
	s_waitcnt lgkmcnt(0)
	s_add_u32 s0, s0, s4
	s_addc_u32 s1, s1, s5
	v_lshlrev_b64 v[0:1], 3, v[0:1]
	v_mov_b32_e32 v2, s1
	v_add_co_u32_e32 v0, vcc, s0, v0
	v_addc_co_u32_e32 v1, vcc, v2, v1, vcc
	global_load_dwordx2 v[2:3], v[0:1], off
	s_add_i32 s8, s10, -1
	s_cmp_lt_i32 s10, 2
	s_cbranch_scc1 .LBB11_12
; %bb.2:
	s_add_i32 s0, s3, s2
	v_mul_lo_u32 v6, s0, v10
	v_ashrrev_i32_e32 v7, 31, v6
	v_lshlrev_b64 v[6:7], 3, v[6:7]
	v_mov_b32_e32 v8, s7
	v_add_co_u32_e32 v6, vcc, s6, v6
	v_mul_lo_u32 v4, v10, s2
	v_addc_co_u32_e32 v7, vcc, v8, v7, vcc
	s_mov_b32 s9, 0
	v_lshl_add_u32 v11, v5, 3, 0
	s_branch .LBB11_4
.LBB11_3:                               ;   in Loop: Header=BB11_4 Depth=1
	s_or_b64 exec, exec, s[0:1]
	s_add_i32 s9, s9, 1
	s_waitcnt vmcnt(0)
	v_pk_add_f32 v[2:3], v[2:3], v[8:9] neg_lo:[0,1] neg_hi:[0,1]
	s_cmp_eq_u32 s8, s9
	v_add_u32_e32 v4, s3, v4
	s_cbranch_scc1 .LBB11_12
.LBB11_4:                               ; =>This Inner Loop Header: Depth=1
	v_cmp_eq_u32_e32 vcc, s9, v10
	s_barrier
	s_and_saveexec_b64 s[0:1], vcc
	s_cbranch_execz .LBB11_10
; %bb.5:                                ;   in Loop: Header=BB11_4 Depth=1
	global_load_dwordx2 v[8:9], v[6:7], off
	s_waitcnt vmcnt(0)
	v_cmp_gt_f32_e32 vcc, 0, v9
	v_cndmask_b32_e64 v5, v9, -v9, vcc
	v_cmp_gt_f32_e32 vcc, 0, v8
	v_cndmask_b32_e64 v12, v8, -v8, vcc
	v_cmp_ngt_f32_e32 vcc, v12, v5
	s_and_saveexec_b64 s[4:5], vcc
	s_xor_b64 s[4:5], exec, s[4:5]
	s_cbranch_execz .LBB11_7
; %bb.6:                                ;   in Loop: Header=BB11_4 Depth=1
	v_div_scale_f32 v5, s[10:11], v9, v9, v8
	v_rcp_f32_e32 v12, v5
	v_div_scale_f32 v13, vcc, v8, v9, v8
	v_fma_f32 v14, -v5, v12, 1.0
	v_fmac_f32_e32 v12, v14, v12
	v_mul_f32_e32 v14, v13, v12
	v_fma_f32 v15, -v5, v14, v13
	v_fmac_f32_e32 v14, v15, v12
	v_fma_f32 v5, -v5, v14, v13
	v_div_fmas_f32 v5, v5, v12, v14
	v_div_fixup_f32 v12, v5, v9, v8
	v_fmac_f32_e32 v9, v8, v12
	v_div_scale_f32 v5, s[10:11], v9, v9, 1.0
	v_rcp_f32_e32 v8, v5
	v_fma_f32 v13, -v5, v8, 1.0
	v_fmac_f32_e32 v8, v13, v8
	v_div_scale_f32 v13, vcc, 1.0, v9, 1.0
	v_mul_f32_e32 v14, v13, v8
	v_fma_f32 v15, -v5, v14, v13
	v_fmac_f32_e32 v14, v15, v8
	v_fma_f32 v5, -v5, v14, v13
	v_div_fmas_f32 v5, v5, v8, v14
	v_pk_fma_f32 v[14:15], v[2:3], v[12:13], v[2:3] op_sel:[0,0,1] op_sel_hi:[1,0,0] neg_lo:[0,0,1] neg_hi:[0,0,1]
	v_pk_fma_f32 v[2:3], v[2:3], v[12:13], v[2:3] op_sel:[0,0,1] op_sel_hi:[1,0,0]
	v_div_fixup_f32 v8, v5, v9, 1.0
	v_mov_b32_e32 v3, v15
	v_pk_mul_f32 v[2:3], v[2:3], v[8:9] op_sel_hi:[1,0]
                                        ; implicit-def: $vgpr8_vgpr9
.LBB11_7:                               ;   in Loop: Header=BB11_4 Depth=1
	s_andn2_saveexec_b64 s[4:5], s[4:5]
	s_cbranch_execz .LBB11_9
; %bb.8:                                ;   in Loop: Header=BB11_4 Depth=1
	v_div_scale_f32 v5, s[10:11], v8, v8, v9
	v_rcp_f32_e32 v12, v5
	v_div_scale_f32 v13, vcc, v9, v8, v9
	v_fma_f32 v14, -v5, v12, 1.0
	v_fmac_f32_e32 v12, v14, v12
	v_mul_f32_e32 v14, v13, v12
	v_fma_f32 v15, -v5, v14, v13
	v_fmac_f32_e32 v14, v15, v12
	v_fma_f32 v5, -v5, v14, v13
	v_div_fmas_f32 v5, v5, v12, v14
	v_div_fixup_f32 v12, v5, v8, v9
	v_fmac_f32_e32 v8, v9, v12
	v_div_scale_f32 v5, s[10:11], v8, v8, 1.0
	v_rcp_f32_e32 v9, v5
	v_fma_f32 v13, -v5, v9, 1.0
	v_fmac_f32_e32 v9, v13, v9
	v_div_scale_f32 v13, vcc, 1.0, v8, 1.0
	v_mul_f32_e32 v14, v13, v9
	v_fma_f32 v15, -v5, v14, v13
	v_fmac_f32_e32 v14, v15, v9
	v_fma_f32 v5, -v5, v14, v13
	v_pk_mul_f32 v[12:13], v[2:3], v[12:13] op_sel_hi:[1,0]
	v_div_fmas_f32 v5, v5, v9, v14
	v_pk_add_f32 v[14:15], v[2:3], v[12:13] op_sel:[0,1] op_sel_hi:[1,0] neg_lo:[0,1] neg_hi:[0,1]
	v_pk_add_f32 v[2:3], v[2:3], v[12:13] op_sel:[0,1] op_sel_hi:[1,0]
	v_div_fixup_f32 v8, v5, v8, 1.0
	v_mov_b32_e32 v3, v15
	v_pk_mul_f32 v[2:3], v[2:3], v[8:9] op_sel_hi:[1,0]
.LBB11_9:                               ;   in Loop: Header=BB11_4 Depth=1
	s_or_b64 exec, exec, s[4:5]
	ds_write_b64 v11, v[2:3]
.LBB11_10:                              ;   in Loop: Header=BB11_4 Depth=1
	s_or_b64 exec, exec, s[0:1]
	v_mov_b32_e32 v8, 0
	v_cmp_lt_u32_e32 vcc, s9, v10
	v_mov_b32_e32 v9, v8
	s_waitcnt lgkmcnt(0)
	s_barrier
	s_and_saveexec_b64 s[0:1], vcc
	s_cbranch_execz .LBB11_3
; %bb.11:                               ;   in Loop: Header=BB11_4 Depth=1
	v_ashrrev_i32_e32 v5, 31, v4
	v_lshlrev_b64 v[8:9], 3, v[4:5]
	v_mov_b32_e32 v5, s7
	v_add_co_u32_e32 v8, vcc, s6, v8
	v_addc_co_u32_e32 v9, vcc, v5, v9, vcc
	global_load_dwordx2 v[8:9], v[8:9], off
	ds_read_b64 v[12:13], v11
	s_waitcnt vmcnt(0) lgkmcnt(0)
	v_pk_mul_f32 v[14:15], v[12:13], v[8:9] op_sel:[0,1]
	v_pk_mul_f32 v[16:17], v[12:13], v[8:9] op_sel_hi:[1,0]
	v_pk_fma_f32 v[8:9], v[12:13], v[8:9], v[14:15] op_sel:[0,0,1] op_sel_hi:[1,0,0]
	v_sub_f32_e32 v8, v16, v15
	s_branch .LBB11_3
.LBB11_12:
	v_cmp_eq_u32_e32 vcc, s8, v10
	s_and_saveexec_b64 s[0:1], vcc
	s_cbranch_execz .LBB11_18
; %bb.13:
	s_add_i32 s2, s3, s2
	v_mul_lo_u32 v4, s2, v10
	v_ashrrev_i32_e32 v5, 31, v4
	v_lshlrev_b64 v[4:5], 3, v[4:5]
	v_mov_b32_e32 v6, s7
	v_add_co_u32_e32 v4, vcc, s6, v4
	v_addc_co_u32_e32 v5, vcc, v6, v5, vcc
	global_load_dwordx2 v[4:5], v[4:5], off
	s_waitcnt vmcnt(0)
	v_cmp_gt_f32_e32 vcc, 0, v5
	v_cndmask_b32_e64 v6, v5, -v5, vcc
	v_cmp_gt_f32_e32 vcc, 0, v4
	v_cndmask_b32_e64 v7, v4, -v4, vcc
	v_cmp_ngt_f32_e32 vcc, v7, v6
	s_and_saveexec_b64 s[2:3], vcc
	s_xor_b64 s[2:3], exec, s[2:3]
	s_cbranch_execz .LBB11_15
; %bb.14:
	v_div_scale_f32 v6, s[4:5], v5, v5, v4
	v_rcp_f32_e32 v7, v6
	v_div_scale_f32 v8, vcc, v4, v5, v4
	v_fma_f32 v9, -v6, v7, 1.0
	v_fmac_f32_e32 v7, v9, v7
	v_mul_f32_e32 v9, v8, v7
	v_fma_f32 v10, -v6, v9, v8
	v_fmac_f32_e32 v9, v10, v7
	v_fma_f32 v6, -v6, v9, v8
	v_div_fmas_f32 v6, v6, v7, v9
	v_div_fixup_f32 v6, v6, v5, v4
	v_fmac_f32_e32 v5, v4, v6
	v_div_scale_f32 v4, s[4:5], v5, v5, 1.0
	v_rcp_f32_e32 v7, v4
	v_fma_f32 v8, -v4, v7, 1.0
	v_fmac_f32_e32 v7, v8, v7
	v_div_scale_f32 v8, vcc, 1.0, v5, 1.0
	v_mul_f32_e32 v9, v8, v7
	v_fma_f32 v10, -v4, v9, v8
	v_fmac_f32_e32 v9, v10, v7
	v_fma_f32 v4, -v4, v9, v8
	v_div_fmas_f32 v4, v4, v7, v9
	v_div_fixup_f32 v4, v4, v5, 1.0
	v_fma_f32 v5, v2, v6, v3
	v_mul_f32_e32 v5, v5, v4
	v_fma_f32 v2, v3, v6, -v2
	v_mul_f32_e32 v3, v2, v4
	v_mov_b32_e32 v2, v5
                                        ; implicit-def: $vgpr4_vgpr5
.LBB11_15:
	s_andn2_saveexec_b64 s[2:3], s[2:3]
	s_cbranch_execz .LBB11_17
; %bb.16:
	v_div_scale_f32 v6, s[4:5], v4, v4, v5
	v_rcp_f32_e32 v7, v6
	v_div_scale_f32 v8, vcc, v5, v4, v5
	v_fma_f32 v9, -v6, v7, 1.0
	v_fmac_f32_e32 v7, v9, v7
	v_mul_f32_e32 v9, v8, v7
	v_fma_f32 v10, -v6, v9, v8
	v_fmac_f32_e32 v9, v10, v7
	v_fma_f32 v6, -v6, v9, v8
	v_div_fmas_f32 v6, v6, v7, v9
	v_div_fixup_f32 v6, v6, v4, v5
	v_fmac_f32_e32 v4, v5, v6
	v_div_scale_f32 v5, s[4:5], v4, v4, 1.0
	v_rcp_f32_e32 v7, v5
	v_fma_f32 v8, -v5, v7, 1.0
	v_fmac_f32_e32 v7, v8, v7
	v_div_scale_f32 v8, vcc, 1.0, v4, 1.0
	v_mul_f32_e32 v9, v8, v7
	v_fma_f32 v10, -v5, v9, v8
	v_fmac_f32_e32 v9, v10, v7
	v_fma_f32 v5, -v5, v9, v8
	v_div_fmas_f32 v5, v5, v7, v9
	v_div_fixup_f32 v4, v5, v4, 1.0
	v_fma_f32 v5, v3, v6, v2
	v_mul_f32_e32 v5, v5, v4
	v_fma_f32 v2, -v2, v6, v3
	v_mul_f32_e32 v3, v2, v4
	v_mov_b32_e32 v2, v5
.LBB11_17:
	s_or_b64 exec, exec, s[2:3]
.LBB11_18:
	s_or_b64 exec, exec, s[0:1]
	s_waitcnt vmcnt(0)
	global_store_dwordx2 v[0:1], v[2:3], off
.LBB11_19:
	s_endpgm
	.section	.rodata,"a",@progbits
	.p2align	6, 0x0
	.amdhsa_kernel _ZN9rocsolver6v33100L35nonunit_forward_substitution_kernelI19rocblas_complex_numIfEiPKPS3_EEvT0_S7_T1_S7_S7_llS8_S7_S7_ll
		.amdhsa_group_segment_fixed_size 0
		.amdhsa_private_segment_fixed_size 0
		.amdhsa_kernarg_size 328
		.amdhsa_user_sgpr_count 6
		.amdhsa_user_sgpr_private_segment_buffer 1
		.amdhsa_user_sgpr_dispatch_ptr 0
		.amdhsa_user_sgpr_queue_ptr 0
		.amdhsa_user_sgpr_kernarg_segment_ptr 1
		.amdhsa_user_sgpr_dispatch_id 0
		.amdhsa_user_sgpr_flat_scratch_init 0
		.amdhsa_user_sgpr_kernarg_preload_length 0
		.amdhsa_user_sgpr_kernarg_preload_offset 0
		.amdhsa_user_sgpr_private_segment_size 0
		.amdhsa_uses_dynamic_stack 0
		.amdhsa_system_sgpr_private_segment_wavefront_offset 0
		.amdhsa_system_sgpr_workgroup_id_x 1
		.amdhsa_system_sgpr_workgroup_id_y 1
		.amdhsa_system_sgpr_workgroup_id_z 1
		.amdhsa_system_sgpr_workgroup_info 0
		.amdhsa_system_vgpr_workitem_id 1
		.amdhsa_next_free_vgpr 18
		.amdhsa_next_free_sgpr 20
		.amdhsa_accum_offset 20
		.amdhsa_reserve_vcc 1
		.amdhsa_reserve_flat_scratch 0
		.amdhsa_float_round_mode_32 0
		.amdhsa_float_round_mode_16_64 0
		.amdhsa_float_denorm_mode_32 3
		.amdhsa_float_denorm_mode_16_64 3
		.amdhsa_dx10_clamp 1
		.amdhsa_ieee_mode 1
		.amdhsa_fp16_overflow 0
		.amdhsa_tg_split 0
		.amdhsa_exception_fp_ieee_invalid_op 0
		.amdhsa_exception_fp_denorm_src 0
		.amdhsa_exception_fp_ieee_div_zero 0
		.amdhsa_exception_fp_ieee_overflow 0
		.amdhsa_exception_fp_ieee_underflow 0
		.amdhsa_exception_fp_ieee_inexact 0
		.amdhsa_exception_int_div_zero 0
	.end_amdhsa_kernel
	.section	.text._ZN9rocsolver6v33100L35nonunit_forward_substitution_kernelI19rocblas_complex_numIfEiPKPS3_EEvT0_S7_T1_S7_S7_llS8_S7_S7_ll,"axG",@progbits,_ZN9rocsolver6v33100L35nonunit_forward_substitution_kernelI19rocblas_complex_numIfEiPKPS3_EEvT0_S7_T1_S7_S7_llS8_S7_S7_ll,comdat
.Lfunc_end11:
	.size	_ZN9rocsolver6v33100L35nonunit_forward_substitution_kernelI19rocblas_complex_numIfEiPKPS3_EEvT0_S7_T1_S7_S7_llS8_S7_S7_ll, .Lfunc_end11-_ZN9rocsolver6v33100L35nonunit_forward_substitution_kernelI19rocblas_complex_numIfEiPKPS3_EEvT0_S7_T1_S7_S7_llS8_S7_S7_ll
                                        ; -- End function
	.section	.AMDGPU.csdata,"",@progbits
; Kernel info:
; codeLenInByte = 1360
; NumSgprs: 24
; NumVgprs: 18
; NumAgprs: 0
; TotalNumVgprs: 18
; ScratchSize: 0
; MemoryBound: 0
; FloatMode: 240
; IeeeMode: 1
; LDSByteSize: 0 bytes/workgroup (compile time only)
; SGPRBlocks: 2
; VGPRBlocks: 2
; NumSGPRsForWavesPerEU: 24
; NumVGPRsForWavesPerEU: 18
; AccumOffset: 20
; Occupancy: 8
; WaveLimiterHint : 1
; COMPUTE_PGM_RSRC2:SCRATCH_EN: 0
; COMPUTE_PGM_RSRC2:USER_SGPR: 6
; COMPUTE_PGM_RSRC2:TRAP_HANDLER: 0
; COMPUTE_PGM_RSRC2:TGID_X_EN: 1
; COMPUTE_PGM_RSRC2:TGID_Y_EN: 1
; COMPUTE_PGM_RSRC2:TGID_Z_EN: 1
; COMPUTE_PGM_RSRC2:TIDIG_COMP_CNT: 1
; COMPUTE_PGM_RSRC3_GFX90A:ACCUM_OFFSET: 4
; COMPUTE_PGM_RSRC3_GFX90A:TG_SPLIT: 0
	.section	.text._ZN9rocsolver6v33100L38conj_unit_backward_substitution_kernelI19rocblas_complex_numIfEiPKPS3_EEvT0_S7_T1_S7_S7_llS8_S7_S7_ll,"axG",@progbits,_ZN9rocsolver6v33100L38conj_unit_backward_substitution_kernelI19rocblas_complex_numIfEiPKPS3_EEvT0_S7_T1_S7_S7_llS8_S7_S7_ll,comdat
	.globl	_ZN9rocsolver6v33100L38conj_unit_backward_substitution_kernelI19rocblas_complex_numIfEiPKPS3_EEvT0_S7_T1_S7_S7_llS8_S7_S7_ll ; -- Begin function _ZN9rocsolver6v33100L38conj_unit_backward_substitution_kernelI19rocblas_complex_numIfEiPKPS3_EEvT0_S7_T1_S7_S7_llS8_S7_S7_ll
	.p2align	8
	.type	_ZN9rocsolver6v33100L38conj_unit_backward_substitution_kernelI19rocblas_complex_numIfEiPKPS3_EEvT0_S7_T1_S7_S7_llS8_S7_S7_ll,@function
_ZN9rocsolver6v33100L38conj_unit_backward_substitution_kernelI19rocblas_complex_numIfEiPKPS3_EEvT0_S7_T1_S7_S7_llS8_S7_S7_ll: ; @_ZN9rocsolver6v33100L38conj_unit_backward_substitution_kernelI19rocblas_complex_numIfEiPKPS3_EEvT0_S7_T1_S7_S7_llS8_S7_S7_ll
; %bb.0:
	s_load_dword s0, s[4:5], 0x54
	s_load_dwordx2 s[10:11], s[4:5], 0x0
	v_bfe_u32 v4, v0, 10, 10
	s_waitcnt lgkmcnt(0)
	s_lshr_b32 s0, s0, 16
	s_mul_i32 s7, s7, s0
	v_add_u32_e32 v1, s7, v4
	v_cmp_gt_i32_e32 vcc, s11, v1
	s_and_saveexec_b64 s[0:1], vcc
	s_cbranch_execz .LBB12_10
; %bb.1:
	s_load_dwordx4 s[0:3], s[4:5], 0x28
	s_load_dwordx2 s[12:13], s[4:5], 0x38
	s_ashr_i32 s9, s8, 31
	s_lshl_b64 s[6:7], s[8:9], 3
	v_and_b32_e32 v8, 0x3ff, v0
	s_waitcnt lgkmcnt(0)
	s_add_u32 s0, s0, s6
	s_addc_u32 s1, s1, s7
	s_load_dwordx2 s[0:1], s[0:1], 0x0
	v_mul_lo_u32 v0, v8, s2
	s_lshl_b64 s[8:9], s[12:13], 3
	v_mad_u64_u32 v[0:1], s[2:3], v1, s3, v[0:1]
	s_waitcnt lgkmcnt(0)
	s_add_u32 s0, s0, s8
	v_ashrrev_i32_e32 v1, 31, v0
	s_addc_u32 s1, s1, s9
	v_lshlrev_b64 v[0:1], 3, v[0:1]
	v_mov_b32_e32 v2, s1
	v_add_co_u32_e32 v0, vcc, s0, v0
	v_addc_co_u32_e32 v1, vcc, v2, v1, vcc
	global_load_dwordx2 v[2:3], v[0:1], off
	s_cmp_lt_i32 s10, 2
	s_cbranch_scc1 .LBB12_9
; %bb.2:
	s_load_dwordx4 s[0:3], s[4:5], 0x8
	s_load_dwordx2 s[8:9], s[4:5], 0x18
	v_lshl_add_u32 v9, v4, 3, 0
	s_waitcnt lgkmcnt(0)
	s_add_u32 s0, s0, s6
	s_addc_u32 s1, s1, s7
	s_load_dwordx2 s[0:1], s[0:1], 0x0
	s_lshl_b64 s[4:5], s[8:9], 3
	v_mul_lo_u32 v4, v8, s2
	s_waitcnt lgkmcnt(0)
	s_add_u32 s2, s0, s4
	s_addc_u32 s4, s1, s5
	s_add_i32 s5, s10, -1
	s_mul_i32 s0, s3, s5
	v_add_u32_e32 v4, s0, v4
.LBB12_3:                               ; =>This Inner Loop Header: Depth=1
	v_cmp_eq_u32_e32 vcc, s5, v8
	s_barrier
	s_and_saveexec_b64 s[0:1], vcc
	s_cbranch_execz .LBB12_5
; %bb.4:                                ;   in Loop: Header=BB12_3 Depth=1
	s_waitcnt vmcnt(0)
	ds_write_b64 v9, v[2:3]
.LBB12_5:                               ;   in Loop: Header=BB12_3 Depth=1
	s_or_b64 exec, exec, s[0:1]
	v_cmp_gt_i32_e32 vcc, s5, v8
	v_mov_b32_e32 v6, 0
	v_mov_b32_e32 v7, 0
	s_waitcnt lgkmcnt(0)
	s_barrier
	s_and_saveexec_b64 s[0:1], vcc
	s_cbranch_execz .LBB12_7
; %bb.6:                                ;   in Loop: Header=BB12_3 Depth=1
	v_ashrrev_i32_e32 v5, 31, v4
	v_lshlrev_b64 v[6:7], 3, v[4:5]
	v_mov_b32_e32 v5, s4
	v_add_co_u32_e32 v6, vcc, s2, v6
	v_addc_co_u32_e32 v7, vcc, v5, v7, vcc
	global_load_dwordx2 v[6:7], v[6:7], off
	ds_read_b64 v[10:11], v9
	s_waitcnt vmcnt(0) lgkmcnt(0)
	v_pk_mul_f32 v[14:15], v[6:7], v[10:11] op_sel:[1,0]
	v_pk_mul_f32 v[12:13], v[6:7], v[10:11] op_sel_hi:[0,1]
	v_pk_fma_f32 v[6:7], v[6:7], v[10:11], v[14:15] op_sel:[0,0,1] op_sel_hi:[0,1,0] neg_lo:[0,0,1] neg_hi:[0,0,1]
	v_add_f32_e32 v6, v12, v15
.LBB12_7:                               ;   in Loop: Header=BB12_3 Depth=1
	s_or_b64 exec, exec, s[0:1]
	s_add_i32 s0, s5, -1
	s_add_i32 s1, s5, 1
	s_waitcnt vmcnt(0)
	v_pk_add_f32 v[2:3], v[2:3], v[6:7] neg_lo:[0,1] neg_hi:[0,1]
	s_cmp_lt_u32 s1, 3
	v_subrev_u32_e32 v4, s3, v4
	s_cbranch_scc1 .LBB12_9
; %bb.8:                                ;   in Loop: Header=BB12_3 Depth=1
	s_mov_b32 s5, s0
	s_branch .LBB12_3
.LBB12_9:
	s_waitcnt vmcnt(0)
	global_store_dwordx2 v[0:1], v[2:3], off
.LBB12_10:
	s_endpgm
	.section	.rodata,"a",@progbits
	.p2align	6, 0x0
	.amdhsa_kernel _ZN9rocsolver6v33100L38conj_unit_backward_substitution_kernelI19rocblas_complex_numIfEiPKPS3_EEvT0_S7_T1_S7_S7_llS8_S7_S7_ll
		.amdhsa_group_segment_fixed_size 0
		.amdhsa_private_segment_fixed_size 0
		.amdhsa_kernarg_size 328
		.amdhsa_user_sgpr_count 6
		.amdhsa_user_sgpr_private_segment_buffer 1
		.amdhsa_user_sgpr_dispatch_ptr 0
		.amdhsa_user_sgpr_queue_ptr 0
		.amdhsa_user_sgpr_kernarg_segment_ptr 1
		.amdhsa_user_sgpr_dispatch_id 0
		.amdhsa_user_sgpr_flat_scratch_init 0
		.amdhsa_user_sgpr_kernarg_preload_length 0
		.amdhsa_user_sgpr_kernarg_preload_offset 0
		.amdhsa_user_sgpr_private_segment_size 0
		.amdhsa_uses_dynamic_stack 0
		.amdhsa_system_sgpr_private_segment_wavefront_offset 0
		.amdhsa_system_sgpr_workgroup_id_x 1
		.amdhsa_system_sgpr_workgroup_id_y 1
		.amdhsa_system_sgpr_workgroup_id_z 1
		.amdhsa_system_sgpr_workgroup_info 0
		.amdhsa_system_vgpr_workitem_id 1
		.amdhsa_next_free_vgpr 16
		.amdhsa_next_free_sgpr 14
		.amdhsa_accum_offset 16
		.amdhsa_reserve_vcc 1
		.amdhsa_reserve_flat_scratch 0
		.amdhsa_float_round_mode_32 0
		.amdhsa_float_round_mode_16_64 0
		.amdhsa_float_denorm_mode_32 3
		.amdhsa_float_denorm_mode_16_64 3
		.amdhsa_dx10_clamp 1
		.amdhsa_ieee_mode 1
		.amdhsa_fp16_overflow 0
		.amdhsa_tg_split 0
		.amdhsa_exception_fp_ieee_invalid_op 0
		.amdhsa_exception_fp_denorm_src 0
		.amdhsa_exception_fp_ieee_div_zero 0
		.amdhsa_exception_fp_ieee_overflow 0
		.amdhsa_exception_fp_ieee_underflow 0
		.amdhsa_exception_fp_ieee_inexact 0
		.amdhsa_exception_int_div_zero 0
	.end_amdhsa_kernel
	.section	.text._ZN9rocsolver6v33100L38conj_unit_backward_substitution_kernelI19rocblas_complex_numIfEiPKPS3_EEvT0_S7_T1_S7_S7_llS8_S7_S7_ll,"axG",@progbits,_ZN9rocsolver6v33100L38conj_unit_backward_substitution_kernelI19rocblas_complex_numIfEiPKPS3_EEvT0_S7_T1_S7_S7_llS8_S7_S7_ll,comdat
.Lfunc_end12:
	.size	_ZN9rocsolver6v33100L38conj_unit_backward_substitution_kernelI19rocblas_complex_numIfEiPKPS3_EEvT0_S7_T1_S7_S7_llS8_S7_S7_ll, .Lfunc_end12-_ZN9rocsolver6v33100L38conj_unit_backward_substitution_kernelI19rocblas_complex_numIfEiPKPS3_EEvT0_S7_T1_S7_S7_llS8_S7_S7_ll
                                        ; -- End function
	.section	.AMDGPU.csdata,"",@progbits
; Kernel info:
; codeLenInByte = 448
; NumSgprs: 18
; NumVgprs: 16
; NumAgprs: 0
; TotalNumVgprs: 16
; ScratchSize: 0
; MemoryBound: 0
; FloatMode: 240
; IeeeMode: 1
; LDSByteSize: 0 bytes/workgroup (compile time only)
; SGPRBlocks: 2
; VGPRBlocks: 1
; NumSGPRsForWavesPerEU: 18
; NumVGPRsForWavesPerEU: 16
; AccumOffset: 16
; Occupancy: 8
; WaveLimiterHint : 1
; COMPUTE_PGM_RSRC2:SCRATCH_EN: 0
; COMPUTE_PGM_RSRC2:USER_SGPR: 6
; COMPUTE_PGM_RSRC2:TRAP_HANDLER: 0
; COMPUTE_PGM_RSRC2:TGID_X_EN: 1
; COMPUTE_PGM_RSRC2:TGID_Y_EN: 1
; COMPUTE_PGM_RSRC2:TGID_Z_EN: 1
; COMPUTE_PGM_RSRC2:TIDIG_COMP_CNT: 1
; COMPUTE_PGM_RSRC3_GFX90A:ACCUM_OFFSET: 3
; COMPUTE_PGM_RSRC3_GFX90A:TG_SPLIT: 0
	.section	.text._ZN9rocsolver6v33100L41conj_nonunit_backward_substitution_kernelI19rocblas_complex_numIfEiPKPS3_EEvT0_S7_T1_S7_S7_llS8_S7_S7_ll,"axG",@progbits,_ZN9rocsolver6v33100L41conj_nonunit_backward_substitution_kernelI19rocblas_complex_numIfEiPKPS3_EEvT0_S7_T1_S7_S7_llS8_S7_S7_ll,comdat
	.globl	_ZN9rocsolver6v33100L41conj_nonunit_backward_substitution_kernelI19rocblas_complex_numIfEiPKPS3_EEvT0_S7_T1_S7_S7_llS8_S7_S7_ll ; -- Begin function _ZN9rocsolver6v33100L41conj_nonunit_backward_substitution_kernelI19rocblas_complex_numIfEiPKPS3_EEvT0_S7_T1_S7_S7_llS8_S7_S7_ll
	.p2align	8
	.type	_ZN9rocsolver6v33100L41conj_nonunit_backward_substitution_kernelI19rocblas_complex_numIfEiPKPS3_EEvT0_S7_T1_S7_S7_llS8_S7_S7_ll,@function
_ZN9rocsolver6v33100L41conj_nonunit_backward_substitution_kernelI19rocblas_complex_numIfEiPKPS3_EEvT0_S7_T1_S7_S7_llS8_S7_S7_ll: ; @_ZN9rocsolver6v33100L41conj_nonunit_backward_substitution_kernelI19rocblas_complex_numIfEiPKPS3_EEvT0_S7_T1_S7_S7_llS8_S7_S7_ll
; %bb.0:
	s_load_dword s0, s[4:5], 0x54
	s_load_dwordx2 s[10:11], s[4:5], 0x0
	v_bfe_u32 v6, v0, 10, 10
	s_waitcnt lgkmcnt(0)
	s_lshr_b32 s0, s0, 16
	s_mul_i32 s7, s7, s0
	v_add_u32_e32 v1, s7, v6
	v_cmp_gt_i32_e32 vcc, s11, v1
	s_and_saveexec_b64 s[0:1], vcc
	s_cbranch_execz .LBB13_20
; %bb.1:
	s_load_dwordx2 s[0:1], s[4:5], 0x8
	s_load_dwordx2 s[2:3], s[4:5], 0x18
	s_ashr_i32 s9, s8, 31
	s_lshl_b64 s[6:7], s[8:9], 3
	s_load_dwordx4 s[12:15], s[4:5], 0x28
	s_waitcnt lgkmcnt(0)
	s_add_u32 s0, s0, s6
	s_addc_u32 s1, s1, s7
	s_load_dwordx2 s[8:9], s[0:1], 0x0
	s_load_dwordx2 s[16:17], s[4:5], 0x38
	s_lshl_b64 s[0:1], s[2:3], 3
	v_and_b32_e32 v10, 0x3ff, v0
	v_mul_lo_u32 v0, v10, s14
	s_waitcnt lgkmcnt(0)
	s_add_u32 s0, s8, s0
	s_addc_u32 s1, s9, s1
	s_add_u32 s2, s12, s6
	s_addc_u32 s3, s13, s7
	s_load_dwordx2 s[2:3], s[2:3], 0x0
	v_mad_u64_u32 v[0:1], s[6:7], v1, s15, v[0:1]
	s_lshl_b64 s[6:7], s[16:17], 3
	v_ashrrev_i32_e32 v1, 31, v0
	s_waitcnt lgkmcnt(0)
	s_add_u32 s2, s2, s6
	s_addc_u32 s3, s3, s7
	v_lshlrev_b64 v[0:1], 3, v[0:1]
	v_mov_b32_e32 v2, s3
	v_add_co_u32_e32 v0, vcc, s2, v0
	v_addc_co_u32_e32 v1, vcc, v2, v1, vcc
	global_load_dwordx2 v[2:3], v[0:1], off
	s_cmp_lt_i32 s10, 2
	s_cbranch_scc1 .LBB13_13
; %bb.2:
	s_load_dwordx2 s[2:3], s[4:5], 0x10
	v_mov_b32_e32 v7, s1
	v_lshl_add_u32 v11, v6, 3, 0
	s_waitcnt lgkmcnt(0)
	v_mul_lo_u32 v8, v10, s2
	s_add_i32 s2, s3, s2
	v_mul_lo_u32 v4, s2, v10
	v_ashrrev_i32_e32 v5, 31, v4
	v_lshlrev_b64 v[4:5], 3, v[4:5]
	s_add_i32 s2, s10, -1
	v_add_co_u32_e32 v4, vcc, s0, v4
	s_mul_i32 s4, s3, s2
	v_addc_co_u32_e32 v5, vcc, v7, v5, vcc
	v_add_u32_e32 v6, s4, v8
.LBB13_3:                               ; =>This Inner Loop Header: Depth=1
	v_cmp_eq_u32_e32 vcc, s2, v10
	s_barrier
	s_and_saveexec_b64 s[4:5], vcc
	s_cbranch_execz .LBB13_9
; %bb.4:                                ;   in Loop: Header=BB13_3 Depth=1
	global_load_dwordx2 v[8:9], v[4:5], off
	s_waitcnt vmcnt(0)
	v_cmp_gt_f32_e32 vcc, 0, v8
	v_cndmask_b32_e64 v7, v8, -v8, vcc
	v_cmp_lt_f32_e32 vcc, 0, v9
	v_cndmask_b32_e64 v12, -v9, v9, vcc
	v_cmp_ngt_f32_e32 vcc, v7, v12
	s_and_saveexec_b64 s[6:7], vcc
	s_xor_b64 s[6:7], exec, s[6:7]
	s_cbranch_execz .LBB13_6
; %bb.5:                                ;   in Loop: Header=BB13_3 Depth=1
	v_div_scale_f32 v7, s[8:9], -v9, -v9, v8
	v_rcp_f32_e32 v12, v7
	v_div_scale_f32 v13, vcc, v8, -v9, v8
	v_fma_f32 v14, -v7, v12, 1.0
	v_fmac_f32_e32 v12, v14, v12
	v_mul_f32_e32 v14, v13, v12
	v_fma_f32 v15, -v7, v14, v13
	v_fmac_f32_e32 v14, v15, v12
	v_fma_f32 v7, -v7, v14, v13
	v_div_fmas_f32 v7, v7, v12, v14
	v_div_fixup_f32 v7, v7, -v9, v8
	v_fma_f32 v8, v8, v7, -v9
	v_div_scale_f32 v9, s[8:9], v8, v8, 1.0
	v_rcp_f32_e32 v12, v9
	v_fma_f32 v13, -v9, v12, 1.0
	v_fmac_f32_e32 v12, v13, v12
	v_div_scale_f32 v13, vcc, 1.0, v8, 1.0
	v_mul_f32_e32 v14, v13, v12
	v_fma_f32 v15, -v9, v14, v13
	v_fmac_f32_e32 v14, v15, v12
	v_fma_f32 v9, -v9, v14, v13
	v_div_fmas_f32 v9, v9, v12, v14
	v_div_fixup_f32 v9, v9, v8, 1.0
	v_fma_f32 v8, v2, v7, v3
	v_fma_f32 v3, v3, v7, -v2
	v_mov_b32_e32 v2, v9
	v_pk_mul_f32 v[2:3], v[8:9], v[2:3]
                                        ; implicit-def: $vgpr8_vgpr9
.LBB13_6:                               ;   in Loop: Header=BB13_3 Depth=1
	s_andn2_saveexec_b64 s[6:7], s[6:7]
	s_cbranch_execz .LBB13_8
; %bb.7:                                ;   in Loop: Header=BB13_3 Depth=1
	v_div_scale_f32 v7, s[8:9], v8, v8, -v9
	v_rcp_f32_e32 v12, v7
	v_div_scale_f32 v13, vcc, -v9, v8, -v9
	v_fma_f32 v14, -v7, v12, 1.0
	v_fmac_f32_e32 v12, v14, v12
	v_mul_f32_e32 v14, v13, v12
	v_fma_f32 v15, -v7, v14, v13
	v_fmac_f32_e32 v14, v15, v12
	v_fma_f32 v7, -v7, v14, v13
	v_div_fmas_f32 v7, v7, v12, v14
	v_div_fixup_f32 v12, v7, v8, -v9
	v_fma_f32 v7, -v9, v12, v8
	v_div_scale_f32 v8, s[8:9], v7, v7, 1.0
	v_rcp_f32_e32 v9, v8
	v_fma_f32 v13, -v8, v9, 1.0
	v_fmac_f32_e32 v9, v13, v9
	v_div_scale_f32 v13, vcc, 1.0, v7, 1.0
	v_mul_f32_e32 v14, v13, v9
	v_fma_f32 v15, -v8, v14, v13
	v_fmac_f32_e32 v14, v15, v9
	v_fma_f32 v8, -v8, v14, v13
	v_pk_mul_f32 v[12:13], v[2:3], v[12:13] op_sel_hi:[1,0]
	v_div_fmas_f32 v8, v8, v9, v14
	v_pk_add_f32 v[14:15], v[2:3], v[12:13] op_sel:[0,1] op_sel_hi:[1,0]
	v_pk_add_f32 v[2:3], v[2:3], v[12:13] op_sel:[0,1] op_sel_hi:[1,0] neg_lo:[0,1] neg_hi:[0,1]
	v_div_fixup_f32 v8, v8, v7, 1.0
	v_mov_b32_e32 v15, v3
	v_pk_mul_f32 v[2:3], v[14:15], v[8:9] op_sel_hi:[1,0]
.LBB13_8:                               ;   in Loop: Header=BB13_3 Depth=1
	s_or_b64 exec, exec, s[6:7]
	ds_write_b64 v11, v[2:3]
.LBB13_9:                               ;   in Loop: Header=BB13_3 Depth=1
	s_or_b64 exec, exec, s[4:5]
	v_mov_b32_e32 v8, 0
	v_cmp_gt_i32_e32 vcc, s2, v10
	v_mov_b32_e32 v9, v8
	s_waitcnt lgkmcnt(0)
	s_barrier
	s_and_saveexec_b64 s[4:5], vcc
	s_cbranch_execz .LBB13_11
; %bb.10:                               ;   in Loop: Header=BB13_3 Depth=1
	v_ashrrev_i32_e32 v7, 31, v6
	v_lshlrev_b64 v[8:9], 3, v[6:7]
	v_mov_b32_e32 v7, s1
	v_add_co_u32_e32 v8, vcc, s0, v8
	v_addc_co_u32_e32 v9, vcc, v7, v9, vcc
	global_load_dwordx2 v[8:9], v[8:9], off
	ds_read_b64 v[12:13], v11
	s_waitcnt vmcnt(0) lgkmcnt(0)
	v_pk_mul_f32 v[16:17], v[8:9], v[12:13] op_sel:[1,0]
	v_pk_mul_f32 v[14:15], v[8:9], v[12:13] op_sel_hi:[0,1]
	v_pk_fma_f32 v[8:9], v[8:9], v[12:13], v[16:17] op_sel:[0,0,1] op_sel_hi:[0,1,0] neg_lo:[0,0,1] neg_hi:[0,0,1]
	v_add_f32_e32 v8, v14, v17
.LBB13_11:                              ;   in Loop: Header=BB13_3 Depth=1
	s_or_b64 exec, exec, s[4:5]
	s_add_i32 s4, s2, -1
	s_add_i32 s2, s2, 1
	s_waitcnt vmcnt(0)
	v_pk_add_f32 v[2:3], v[2:3], v[8:9] neg_lo:[0,1] neg_hi:[0,1]
	s_cmp_lt_u32 s2, 3
	v_subrev_u32_e32 v6, s3, v6
	s_cbranch_scc1 .LBB13_13
; %bb.12:                               ;   in Loop: Header=BB13_3 Depth=1
	s_mov_b32 s2, s4
	s_branch .LBB13_3
.LBB13_13:
	v_cmp_eq_u32_e32 vcc, 0, v10
	s_and_saveexec_b64 s[2:3], vcc
	s_cbranch_execz .LBB13_19
; %bb.14:
	s_load_dwordx2 s[0:1], s[0:1], 0x0
	s_waitcnt lgkmcnt(0)
	v_mov_b32_e32 v4, s0
	v_cmp_lt_f32_e64 s[4:5], s0, 0
	v_mov_b32_e32 v5, s1
	v_cndmask_b32_e64 v4, v4, -v4, s[4:5]
	v_cmp_gt_f32_e64 s[4:5], s1, 0
	v_cndmask_b32_e64 v5, -v5, v5, s[4:5]
	v_cmp_ngt_f32_e32 vcc, v4, v5
	s_cbranch_vccz .LBB13_16
; %bb.15:
	v_mov_b32_e32 v4, s0
	v_div_scale_f32 v5, s[4:5], -s1, -s1, v4
	v_rcp_f32_e32 v6, v5
	v_mov_b32_e32 v7, s1
	v_fma_f32 v8, -v5, v6, 1.0
	v_fmac_f32_e32 v6, v8, v6
	v_div_scale_f32 v8, vcc, s0, -v7, s0
	v_mul_f32_e32 v9, v8, v6
	v_fma_f32 v10, -v5, v9, v8
	v_fmac_f32_e32 v9, v10, v6
	v_fma_f32 v5, -v5, v9, v8
	v_div_fmas_f32 v5, v5, v6, v9
	v_div_fixup_f32 v6, v5, -s1, v4
	v_fma_f32 v4, s0, v6, -v7
	v_div_scale_f32 v5, s[4:5], v4, v4, 1.0
	v_rcp_f32_e32 v7, v5
	v_fma_f32 v8, -v5, v7, 1.0
	v_fmac_f32_e32 v7, v8, v7
	v_div_scale_f32 v8, vcc, 1.0, v4, 1.0
	v_mul_f32_e32 v9, v8, v7
	v_fma_f32 v10, -v5, v9, v8
	v_fmac_f32_e32 v9, v10, v7
	v_fma_f32 v5, -v5, v9, v8
	v_div_fmas_f32 v5, v5, v7, v9
	v_div_fixup_f32 v5, v5, v4, 1.0
	s_waitcnt vmcnt(0)
	v_fma_f32 v4, v2, v6, v3
	v_fma_f32 v7, v3, v6, -v2
	v_mov_b32_e32 v6, v5
	v_pk_mul_f32 v[4:5], v[4:5], v[6:7]
	s_cbranch_execz .LBB13_17
	s_branch .LBB13_18
.LBB13_16:
                                        ; implicit-def: $vgpr4_vgpr5
.LBB13_17:
	v_mov_b32_e32 v4, s1
	v_div_scale_f32 v5, s[4:5], s0, s0, -v4
	v_rcp_f32_e32 v6, v5
	v_mov_b32_e32 v7, s0
	v_fma_f32 v8, -v5, v6, 1.0
	v_fmac_f32_e32 v6, v8, v6
	v_div_scale_f32 v8, vcc, -s1, v7, -s1
	v_mul_f32_e32 v9, v8, v6
	v_fma_f32 v10, -v5, v9, v8
	v_fmac_f32_e32 v9, v10, v6
	v_fma_f32 v5, -v5, v9, v8
	v_div_fmas_f32 v5, v5, v6, v9
	v_div_fixup_f32 v4, v5, s0, -v4
	v_fma_f32 v5, -s1, v4, v7
	v_div_scale_f32 v6, s[0:1], v5, v5, 1.0
	v_rcp_f32_e32 v7, v6
	v_fma_f32 v8, -v6, v7, 1.0
	v_fmac_f32_e32 v7, v8, v7
	v_div_scale_f32 v8, vcc, 1.0, v5, 1.0
	v_mul_f32_e32 v9, v8, v7
	v_fma_f32 v10, -v6, v9, v8
	v_fmac_f32_e32 v9, v10, v7
	v_fma_f32 v6, -v6, v9, v8
	v_div_fmas_f32 v6, v6, v7, v9
	v_div_fixup_f32 v6, v6, v5, 1.0
	s_waitcnt vmcnt(0)
	v_pk_mul_f32 v[4:5], v[2:3], v[4:5] op_sel_hi:[1,0]
	v_pk_add_f32 v[8:9], v[2:3], v[4:5] op_sel:[0,1] op_sel_hi:[1,0]
	v_pk_add_f32 v[2:3], v[2:3], v[4:5] op_sel:[0,1] op_sel_hi:[1,0] neg_lo:[0,1] neg_hi:[0,1]
	v_mov_b32_e32 v9, v3
	v_pk_mul_f32 v[4:5], v[8:9], v[6:7] op_sel_hi:[1,0]
.LBB13_18:
	s_waitcnt vmcnt(0)
	v_pk_mov_b32 v[2:3], v[4:5], v[4:5] op_sel:[0,1]
.LBB13_19:
	s_or_b64 exec, exec, s[2:3]
	s_waitcnt vmcnt(0)
	global_store_dwordx2 v[0:1], v[2:3], off
.LBB13_20:
	s_endpgm
	.section	.rodata,"a",@progbits
	.p2align	6, 0x0
	.amdhsa_kernel _ZN9rocsolver6v33100L41conj_nonunit_backward_substitution_kernelI19rocblas_complex_numIfEiPKPS3_EEvT0_S7_T1_S7_S7_llS8_S7_S7_ll
		.amdhsa_group_segment_fixed_size 0
		.amdhsa_private_segment_fixed_size 0
		.amdhsa_kernarg_size 328
		.amdhsa_user_sgpr_count 6
		.amdhsa_user_sgpr_private_segment_buffer 1
		.amdhsa_user_sgpr_dispatch_ptr 0
		.amdhsa_user_sgpr_queue_ptr 0
		.amdhsa_user_sgpr_kernarg_segment_ptr 1
		.amdhsa_user_sgpr_dispatch_id 0
		.amdhsa_user_sgpr_flat_scratch_init 0
		.amdhsa_user_sgpr_kernarg_preload_length 0
		.amdhsa_user_sgpr_kernarg_preload_offset 0
		.amdhsa_user_sgpr_private_segment_size 0
		.amdhsa_uses_dynamic_stack 0
		.amdhsa_system_sgpr_private_segment_wavefront_offset 0
		.amdhsa_system_sgpr_workgroup_id_x 1
		.amdhsa_system_sgpr_workgroup_id_y 1
		.amdhsa_system_sgpr_workgroup_id_z 1
		.amdhsa_system_sgpr_workgroup_info 0
		.amdhsa_system_vgpr_workitem_id 1
		.amdhsa_next_free_vgpr 18
		.amdhsa_next_free_sgpr 18
		.amdhsa_accum_offset 20
		.amdhsa_reserve_vcc 1
		.amdhsa_reserve_flat_scratch 0
		.amdhsa_float_round_mode_32 0
		.amdhsa_float_round_mode_16_64 0
		.amdhsa_float_denorm_mode_32 3
		.amdhsa_float_denorm_mode_16_64 3
		.amdhsa_dx10_clamp 1
		.amdhsa_ieee_mode 1
		.amdhsa_fp16_overflow 0
		.amdhsa_tg_split 0
		.amdhsa_exception_fp_ieee_invalid_op 0
		.amdhsa_exception_fp_denorm_src 0
		.amdhsa_exception_fp_ieee_div_zero 0
		.amdhsa_exception_fp_ieee_overflow 0
		.amdhsa_exception_fp_ieee_underflow 0
		.amdhsa_exception_fp_ieee_inexact 0
		.amdhsa_exception_int_div_zero 0
	.end_amdhsa_kernel
	.section	.text._ZN9rocsolver6v33100L41conj_nonunit_backward_substitution_kernelI19rocblas_complex_numIfEiPKPS3_EEvT0_S7_T1_S7_S7_llS8_S7_S7_ll,"axG",@progbits,_ZN9rocsolver6v33100L41conj_nonunit_backward_substitution_kernelI19rocblas_complex_numIfEiPKPS3_EEvT0_S7_T1_S7_S7_llS8_S7_S7_ll,comdat
.Lfunc_end13:
	.size	_ZN9rocsolver6v33100L41conj_nonunit_backward_substitution_kernelI19rocblas_complex_numIfEiPKPS3_EEvT0_S7_T1_S7_S7_llS8_S7_S7_ll, .Lfunc_end13-_ZN9rocsolver6v33100L41conj_nonunit_backward_substitution_kernelI19rocblas_complex_numIfEiPKPS3_EEvT0_S7_T1_S7_S7_llS8_S7_S7_ll
                                        ; -- End function
	.section	.AMDGPU.csdata,"",@progbits
; Kernel info:
; codeLenInByte = 1408
; NumSgprs: 22
; NumVgprs: 18
; NumAgprs: 0
; TotalNumVgprs: 18
; ScratchSize: 0
; MemoryBound: 0
; FloatMode: 240
; IeeeMode: 1
; LDSByteSize: 0 bytes/workgroup (compile time only)
; SGPRBlocks: 2
; VGPRBlocks: 2
; NumSGPRsForWavesPerEU: 22
; NumVGPRsForWavesPerEU: 18
; AccumOffset: 20
; Occupancy: 8
; WaveLimiterHint : 1
; COMPUTE_PGM_RSRC2:SCRATCH_EN: 0
; COMPUTE_PGM_RSRC2:USER_SGPR: 6
; COMPUTE_PGM_RSRC2:TRAP_HANDLER: 0
; COMPUTE_PGM_RSRC2:TGID_X_EN: 1
; COMPUTE_PGM_RSRC2:TGID_Y_EN: 1
; COMPUTE_PGM_RSRC2:TGID_Z_EN: 1
; COMPUTE_PGM_RSRC2:TIDIG_COMP_CNT: 1
; COMPUTE_PGM_RSRC3_GFX90A:ACCUM_OFFSET: 4
; COMPUTE_PGM_RSRC3_GFX90A:TG_SPLIT: 0
	.section	.text._ZN9rocsolver6v33100L33unit_backward_substitution_kernelI19rocblas_complex_numIfEiPKPS3_EEvT0_S7_T1_S7_S7_llS8_S7_S7_ll,"axG",@progbits,_ZN9rocsolver6v33100L33unit_backward_substitution_kernelI19rocblas_complex_numIfEiPKPS3_EEvT0_S7_T1_S7_S7_llS8_S7_S7_ll,comdat
	.globl	_ZN9rocsolver6v33100L33unit_backward_substitution_kernelI19rocblas_complex_numIfEiPKPS3_EEvT0_S7_T1_S7_S7_llS8_S7_S7_ll ; -- Begin function _ZN9rocsolver6v33100L33unit_backward_substitution_kernelI19rocblas_complex_numIfEiPKPS3_EEvT0_S7_T1_S7_S7_llS8_S7_S7_ll
	.p2align	8
	.type	_ZN9rocsolver6v33100L33unit_backward_substitution_kernelI19rocblas_complex_numIfEiPKPS3_EEvT0_S7_T1_S7_S7_llS8_S7_S7_ll,@function
_ZN9rocsolver6v33100L33unit_backward_substitution_kernelI19rocblas_complex_numIfEiPKPS3_EEvT0_S7_T1_S7_S7_llS8_S7_S7_ll: ; @_ZN9rocsolver6v33100L33unit_backward_substitution_kernelI19rocblas_complex_numIfEiPKPS3_EEvT0_S7_T1_S7_S7_llS8_S7_S7_ll
; %bb.0:
	s_load_dword s0, s[4:5], 0x54
	s_load_dwordx2 s[10:11], s[4:5], 0x0
	v_bfe_u32 v4, v0, 10, 10
	s_waitcnt lgkmcnt(0)
	s_lshr_b32 s0, s0, 16
	s_mul_i32 s7, s7, s0
	v_add_u32_e32 v1, s7, v4
	v_cmp_gt_i32_e32 vcc, s11, v1
	s_and_saveexec_b64 s[0:1], vcc
	s_cbranch_execz .LBB14_10
; %bb.1:
	s_load_dwordx4 s[0:3], s[4:5], 0x28
	s_load_dwordx2 s[12:13], s[4:5], 0x38
	s_ashr_i32 s9, s8, 31
	s_lshl_b64 s[6:7], s[8:9], 3
	v_and_b32_e32 v8, 0x3ff, v0
	s_waitcnt lgkmcnt(0)
	s_add_u32 s0, s0, s6
	s_addc_u32 s1, s1, s7
	s_load_dwordx2 s[0:1], s[0:1], 0x0
	v_mul_lo_u32 v0, v8, s2
	s_lshl_b64 s[8:9], s[12:13], 3
	v_mad_u64_u32 v[0:1], s[2:3], v1, s3, v[0:1]
	s_waitcnt lgkmcnt(0)
	s_add_u32 s0, s0, s8
	v_ashrrev_i32_e32 v1, 31, v0
	s_addc_u32 s1, s1, s9
	v_lshlrev_b64 v[0:1], 3, v[0:1]
	v_mov_b32_e32 v2, s1
	v_add_co_u32_e32 v0, vcc, s0, v0
	v_addc_co_u32_e32 v1, vcc, v2, v1, vcc
	global_load_dwordx2 v[2:3], v[0:1], off
	s_cmp_lt_i32 s10, 2
	s_cbranch_scc1 .LBB14_9
; %bb.2:
	s_load_dwordx4 s[0:3], s[4:5], 0x8
	s_load_dwordx2 s[8:9], s[4:5], 0x18
	v_lshl_add_u32 v9, v4, 3, 0
	s_waitcnt lgkmcnt(0)
	s_add_u32 s0, s0, s6
	s_addc_u32 s1, s1, s7
	s_load_dwordx2 s[0:1], s[0:1], 0x0
	s_lshl_b64 s[4:5], s[8:9], 3
	v_mul_lo_u32 v4, v8, s2
	s_waitcnt lgkmcnt(0)
	s_add_u32 s2, s0, s4
	s_addc_u32 s4, s1, s5
	s_add_i32 s5, s10, -1
	s_mul_i32 s0, s3, s5
	v_add_u32_e32 v4, s0, v4
.LBB14_3:                               ; =>This Inner Loop Header: Depth=1
	v_cmp_eq_u32_e32 vcc, s5, v8
	s_barrier
	s_and_saveexec_b64 s[0:1], vcc
	s_cbranch_execz .LBB14_5
; %bb.4:                                ;   in Loop: Header=BB14_3 Depth=1
	s_waitcnt vmcnt(0)
	ds_write_b64 v9, v[2:3]
.LBB14_5:                               ;   in Loop: Header=BB14_3 Depth=1
	s_or_b64 exec, exec, s[0:1]
	v_cmp_gt_i32_e32 vcc, s5, v8
	v_mov_b32_e32 v6, 0
	v_mov_b32_e32 v7, 0
	s_waitcnt lgkmcnt(0)
	s_barrier
	s_and_saveexec_b64 s[0:1], vcc
	s_cbranch_execz .LBB14_7
; %bb.6:                                ;   in Loop: Header=BB14_3 Depth=1
	v_ashrrev_i32_e32 v5, 31, v4
	v_lshlrev_b64 v[6:7], 3, v[4:5]
	v_mov_b32_e32 v5, s4
	v_add_co_u32_e32 v6, vcc, s2, v6
	v_addc_co_u32_e32 v7, vcc, v5, v7, vcc
	global_load_dwordx2 v[6:7], v[6:7], off
	ds_read_b64 v[10:11], v9
	s_waitcnt vmcnt(0) lgkmcnt(0)
	v_pk_mul_f32 v[12:13], v[10:11], v[6:7] op_sel:[0,1]
	v_pk_mul_f32 v[14:15], v[10:11], v[6:7] op_sel_hi:[1,0]
	v_pk_fma_f32 v[6:7], v[10:11], v[6:7], v[12:13] op_sel:[0,0,1] op_sel_hi:[1,0,0]
	v_sub_f32_e32 v6, v14, v13
.LBB14_7:                               ;   in Loop: Header=BB14_3 Depth=1
	s_or_b64 exec, exec, s[0:1]
	s_add_i32 s0, s5, -1
	s_add_i32 s1, s5, 1
	s_waitcnt vmcnt(0)
	v_pk_add_f32 v[2:3], v[2:3], v[6:7] neg_lo:[0,1] neg_hi:[0,1]
	s_cmp_lt_u32 s1, 3
	v_subrev_u32_e32 v4, s3, v4
	s_cbranch_scc1 .LBB14_9
; %bb.8:                                ;   in Loop: Header=BB14_3 Depth=1
	s_mov_b32 s5, s0
	s_branch .LBB14_3
.LBB14_9:
	s_waitcnt vmcnt(0)
	global_store_dwordx2 v[0:1], v[2:3], off
.LBB14_10:
	s_endpgm
	.section	.rodata,"a",@progbits
	.p2align	6, 0x0
	.amdhsa_kernel _ZN9rocsolver6v33100L33unit_backward_substitution_kernelI19rocblas_complex_numIfEiPKPS3_EEvT0_S7_T1_S7_S7_llS8_S7_S7_ll
		.amdhsa_group_segment_fixed_size 0
		.amdhsa_private_segment_fixed_size 0
		.amdhsa_kernarg_size 328
		.amdhsa_user_sgpr_count 6
		.amdhsa_user_sgpr_private_segment_buffer 1
		.amdhsa_user_sgpr_dispatch_ptr 0
		.amdhsa_user_sgpr_queue_ptr 0
		.amdhsa_user_sgpr_kernarg_segment_ptr 1
		.amdhsa_user_sgpr_dispatch_id 0
		.amdhsa_user_sgpr_flat_scratch_init 0
		.amdhsa_user_sgpr_kernarg_preload_length 0
		.amdhsa_user_sgpr_kernarg_preload_offset 0
		.amdhsa_user_sgpr_private_segment_size 0
		.amdhsa_uses_dynamic_stack 0
		.amdhsa_system_sgpr_private_segment_wavefront_offset 0
		.amdhsa_system_sgpr_workgroup_id_x 1
		.amdhsa_system_sgpr_workgroup_id_y 1
		.amdhsa_system_sgpr_workgroup_id_z 1
		.amdhsa_system_sgpr_workgroup_info 0
		.amdhsa_system_vgpr_workitem_id 1
		.amdhsa_next_free_vgpr 16
		.amdhsa_next_free_sgpr 14
		.amdhsa_accum_offset 16
		.amdhsa_reserve_vcc 1
		.amdhsa_reserve_flat_scratch 0
		.amdhsa_float_round_mode_32 0
		.amdhsa_float_round_mode_16_64 0
		.amdhsa_float_denorm_mode_32 3
		.amdhsa_float_denorm_mode_16_64 3
		.amdhsa_dx10_clamp 1
		.amdhsa_ieee_mode 1
		.amdhsa_fp16_overflow 0
		.amdhsa_tg_split 0
		.amdhsa_exception_fp_ieee_invalid_op 0
		.amdhsa_exception_fp_denorm_src 0
		.amdhsa_exception_fp_ieee_div_zero 0
		.amdhsa_exception_fp_ieee_overflow 0
		.amdhsa_exception_fp_ieee_underflow 0
		.amdhsa_exception_fp_ieee_inexact 0
		.amdhsa_exception_int_div_zero 0
	.end_amdhsa_kernel
	.section	.text._ZN9rocsolver6v33100L33unit_backward_substitution_kernelI19rocblas_complex_numIfEiPKPS3_EEvT0_S7_T1_S7_S7_llS8_S7_S7_ll,"axG",@progbits,_ZN9rocsolver6v33100L33unit_backward_substitution_kernelI19rocblas_complex_numIfEiPKPS3_EEvT0_S7_T1_S7_S7_llS8_S7_S7_ll,comdat
.Lfunc_end14:
	.size	_ZN9rocsolver6v33100L33unit_backward_substitution_kernelI19rocblas_complex_numIfEiPKPS3_EEvT0_S7_T1_S7_S7_llS8_S7_S7_ll, .Lfunc_end14-_ZN9rocsolver6v33100L33unit_backward_substitution_kernelI19rocblas_complex_numIfEiPKPS3_EEvT0_S7_T1_S7_S7_llS8_S7_S7_ll
                                        ; -- End function
	.section	.AMDGPU.csdata,"",@progbits
; Kernel info:
; codeLenInByte = 448
; NumSgprs: 18
; NumVgprs: 16
; NumAgprs: 0
; TotalNumVgprs: 16
; ScratchSize: 0
; MemoryBound: 0
; FloatMode: 240
; IeeeMode: 1
; LDSByteSize: 0 bytes/workgroup (compile time only)
; SGPRBlocks: 2
; VGPRBlocks: 1
; NumSGPRsForWavesPerEU: 18
; NumVGPRsForWavesPerEU: 16
; AccumOffset: 16
; Occupancy: 8
; WaveLimiterHint : 1
; COMPUTE_PGM_RSRC2:SCRATCH_EN: 0
; COMPUTE_PGM_RSRC2:USER_SGPR: 6
; COMPUTE_PGM_RSRC2:TRAP_HANDLER: 0
; COMPUTE_PGM_RSRC2:TGID_X_EN: 1
; COMPUTE_PGM_RSRC2:TGID_Y_EN: 1
; COMPUTE_PGM_RSRC2:TGID_Z_EN: 1
; COMPUTE_PGM_RSRC2:TIDIG_COMP_CNT: 1
; COMPUTE_PGM_RSRC3_GFX90A:ACCUM_OFFSET: 3
; COMPUTE_PGM_RSRC3_GFX90A:TG_SPLIT: 0
	.section	.text._ZN9rocsolver6v33100L36nonunit_backward_substitution_kernelI19rocblas_complex_numIfEiPKPS3_EEvT0_S7_T1_S7_S7_llS8_S7_S7_ll,"axG",@progbits,_ZN9rocsolver6v33100L36nonunit_backward_substitution_kernelI19rocblas_complex_numIfEiPKPS3_EEvT0_S7_T1_S7_S7_llS8_S7_S7_ll,comdat
	.globl	_ZN9rocsolver6v33100L36nonunit_backward_substitution_kernelI19rocblas_complex_numIfEiPKPS3_EEvT0_S7_T1_S7_S7_llS8_S7_S7_ll ; -- Begin function _ZN9rocsolver6v33100L36nonunit_backward_substitution_kernelI19rocblas_complex_numIfEiPKPS3_EEvT0_S7_T1_S7_S7_llS8_S7_S7_ll
	.p2align	8
	.type	_ZN9rocsolver6v33100L36nonunit_backward_substitution_kernelI19rocblas_complex_numIfEiPKPS3_EEvT0_S7_T1_S7_S7_llS8_S7_S7_ll,@function
_ZN9rocsolver6v33100L36nonunit_backward_substitution_kernelI19rocblas_complex_numIfEiPKPS3_EEvT0_S7_T1_S7_S7_llS8_S7_S7_ll: ; @_ZN9rocsolver6v33100L36nonunit_backward_substitution_kernelI19rocblas_complex_numIfEiPKPS3_EEvT0_S7_T1_S7_S7_llS8_S7_S7_ll
; %bb.0:
	s_load_dword s0, s[4:5], 0x54
	s_load_dwordx2 s[10:11], s[4:5], 0x0
	v_bfe_u32 v6, v0, 10, 10
	s_waitcnt lgkmcnt(0)
	s_lshr_b32 s0, s0, 16
	s_mul_i32 s7, s7, s0
	v_add_u32_e32 v1, s7, v6
	v_cmp_gt_i32_e32 vcc, s11, v1
	s_and_saveexec_b64 s[0:1], vcc
	s_cbranch_execz .LBB15_20
; %bb.1:
	s_load_dwordx2 s[0:1], s[4:5], 0x8
	s_load_dwordx2 s[2:3], s[4:5], 0x18
	s_ashr_i32 s9, s8, 31
	s_lshl_b64 s[6:7], s[8:9], 3
	s_load_dwordx4 s[12:15], s[4:5], 0x28
	s_waitcnt lgkmcnt(0)
	s_add_u32 s0, s0, s6
	s_addc_u32 s1, s1, s7
	s_load_dwordx2 s[8:9], s[0:1], 0x0
	s_load_dwordx2 s[16:17], s[4:5], 0x38
	s_lshl_b64 s[0:1], s[2:3], 3
	v_and_b32_e32 v10, 0x3ff, v0
	v_mul_lo_u32 v0, v10, s14
	s_waitcnt lgkmcnt(0)
	s_add_u32 s0, s8, s0
	s_addc_u32 s1, s9, s1
	s_add_u32 s2, s12, s6
	s_addc_u32 s3, s13, s7
	s_load_dwordx2 s[2:3], s[2:3], 0x0
	v_mad_u64_u32 v[0:1], s[6:7], v1, s15, v[0:1]
	s_lshl_b64 s[6:7], s[16:17], 3
	v_ashrrev_i32_e32 v1, 31, v0
	s_waitcnt lgkmcnt(0)
	s_add_u32 s2, s2, s6
	s_addc_u32 s3, s3, s7
	v_lshlrev_b64 v[0:1], 3, v[0:1]
	v_mov_b32_e32 v2, s3
	v_add_co_u32_e32 v0, vcc, s2, v0
	v_addc_co_u32_e32 v1, vcc, v2, v1, vcc
	global_load_dwordx2 v[2:3], v[0:1], off
	s_cmp_lt_i32 s10, 2
	s_cbranch_scc1 .LBB15_13
; %bb.2:
	s_load_dwordx2 s[2:3], s[4:5], 0x10
	v_mov_b32_e32 v7, s1
	v_lshl_add_u32 v11, v6, 3, 0
	s_waitcnt lgkmcnt(0)
	v_mul_lo_u32 v8, v10, s2
	s_add_i32 s2, s3, s2
	v_mul_lo_u32 v4, s2, v10
	v_ashrrev_i32_e32 v5, 31, v4
	v_lshlrev_b64 v[4:5], 3, v[4:5]
	s_add_i32 s2, s10, -1
	v_add_co_u32_e32 v4, vcc, s0, v4
	s_mul_i32 s4, s3, s2
	v_addc_co_u32_e32 v5, vcc, v7, v5, vcc
	v_add_u32_e32 v6, s4, v8
.LBB15_3:                               ; =>This Inner Loop Header: Depth=1
	v_cmp_eq_u32_e32 vcc, s2, v10
	s_barrier
	s_and_saveexec_b64 s[4:5], vcc
	s_cbranch_execz .LBB15_9
; %bb.4:                                ;   in Loop: Header=BB15_3 Depth=1
	global_load_dwordx2 v[8:9], v[4:5], off
	s_waitcnt vmcnt(0)
	v_cmp_gt_f32_e32 vcc, 0, v9
	v_cndmask_b32_e64 v7, v9, -v9, vcc
	v_cmp_gt_f32_e32 vcc, 0, v8
	v_cndmask_b32_e64 v12, v8, -v8, vcc
	v_cmp_ngt_f32_e32 vcc, v12, v7
	s_and_saveexec_b64 s[6:7], vcc
	s_xor_b64 s[6:7], exec, s[6:7]
	s_cbranch_execz .LBB15_6
; %bb.5:                                ;   in Loop: Header=BB15_3 Depth=1
	v_div_scale_f32 v7, s[8:9], v9, v9, v8
	v_rcp_f32_e32 v12, v7
	v_div_scale_f32 v13, vcc, v8, v9, v8
	v_fma_f32 v14, -v7, v12, 1.0
	v_fmac_f32_e32 v12, v14, v12
	v_mul_f32_e32 v14, v13, v12
	v_fma_f32 v15, -v7, v14, v13
	v_fmac_f32_e32 v14, v15, v12
	v_fma_f32 v7, -v7, v14, v13
	v_div_fmas_f32 v7, v7, v12, v14
	v_div_fixup_f32 v12, v7, v9, v8
	v_fmac_f32_e32 v9, v8, v12
	v_div_scale_f32 v7, s[8:9], v9, v9, 1.0
	v_rcp_f32_e32 v8, v7
	v_fma_f32 v13, -v7, v8, 1.0
	v_fmac_f32_e32 v8, v13, v8
	v_div_scale_f32 v13, vcc, 1.0, v9, 1.0
	v_mul_f32_e32 v14, v13, v8
	v_fma_f32 v15, -v7, v14, v13
	v_fmac_f32_e32 v14, v15, v8
	v_fma_f32 v7, -v7, v14, v13
	v_div_fmas_f32 v7, v7, v8, v14
	v_pk_fma_f32 v[14:15], v[2:3], v[12:13], v[2:3] op_sel:[0,0,1] op_sel_hi:[1,0,0] neg_lo:[0,0,1] neg_hi:[0,0,1]
	v_pk_fma_f32 v[2:3], v[2:3], v[12:13], v[2:3] op_sel:[0,0,1] op_sel_hi:[1,0,0]
	v_div_fixup_f32 v8, v7, v9, 1.0
	v_mov_b32_e32 v3, v15
	v_pk_mul_f32 v[2:3], v[2:3], v[8:9] op_sel_hi:[1,0]
                                        ; implicit-def: $vgpr8_vgpr9
.LBB15_6:                               ;   in Loop: Header=BB15_3 Depth=1
	s_andn2_saveexec_b64 s[6:7], s[6:7]
	s_cbranch_execz .LBB15_8
; %bb.7:                                ;   in Loop: Header=BB15_3 Depth=1
	v_div_scale_f32 v7, s[8:9], v8, v8, v9
	v_rcp_f32_e32 v12, v7
	v_div_scale_f32 v13, vcc, v9, v8, v9
	v_fma_f32 v14, -v7, v12, 1.0
	v_fmac_f32_e32 v12, v14, v12
	v_mul_f32_e32 v14, v13, v12
	v_fma_f32 v15, -v7, v14, v13
	v_fmac_f32_e32 v14, v15, v12
	v_fma_f32 v7, -v7, v14, v13
	v_div_fmas_f32 v7, v7, v12, v14
	v_div_fixup_f32 v12, v7, v8, v9
	v_fmac_f32_e32 v8, v9, v12
	v_div_scale_f32 v7, s[8:9], v8, v8, 1.0
	v_rcp_f32_e32 v9, v7
	v_fma_f32 v13, -v7, v9, 1.0
	v_fmac_f32_e32 v9, v13, v9
	v_div_scale_f32 v13, vcc, 1.0, v8, 1.0
	v_mul_f32_e32 v14, v13, v9
	v_fma_f32 v15, -v7, v14, v13
	v_fmac_f32_e32 v14, v15, v9
	v_fma_f32 v7, -v7, v14, v13
	v_pk_mul_f32 v[12:13], v[2:3], v[12:13] op_sel_hi:[1,0]
	v_div_fmas_f32 v7, v7, v9, v14
	v_pk_add_f32 v[14:15], v[2:3], v[12:13] op_sel:[0,1] op_sel_hi:[1,0] neg_lo:[0,1] neg_hi:[0,1]
	v_pk_add_f32 v[2:3], v[2:3], v[12:13] op_sel:[0,1] op_sel_hi:[1,0]
	v_div_fixup_f32 v8, v7, v8, 1.0
	v_mov_b32_e32 v3, v15
	v_pk_mul_f32 v[2:3], v[2:3], v[8:9] op_sel_hi:[1,0]
.LBB15_8:                               ;   in Loop: Header=BB15_3 Depth=1
	s_or_b64 exec, exec, s[6:7]
	ds_write_b64 v11, v[2:3]
.LBB15_9:                               ;   in Loop: Header=BB15_3 Depth=1
	s_or_b64 exec, exec, s[4:5]
	v_mov_b32_e32 v8, 0
	v_cmp_gt_i32_e32 vcc, s2, v10
	v_mov_b32_e32 v9, v8
	s_waitcnt lgkmcnt(0)
	s_barrier
	s_and_saveexec_b64 s[4:5], vcc
	s_cbranch_execz .LBB15_11
; %bb.10:                               ;   in Loop: Header=BB15_3 Depth=1
	v_ashrrev_i32_e32 v7, 31, v6
	v_lshlrev_b64 v[8:9], 3, v[6:7]
	v_mov_b32_e32 v7, s1
	v_add_co_u32_e32 v8, vcc, s0, v8
	v_addc_co_u32_e32 v9, vcc, v7, v9, vcc
	global_load_dwordx2 v[8:9], v[8:9], off
	ds_read_b64 v[12:13], v11
	s_waitcnt vmcnt(0) lgkmcnt(0)
	v_pk_mul_f32 v[14:15], v[12:13], v[8:9] op_sel:[0,1]
	v_pk_mul_f32 v[16:17], v[12:13], v[8:9] op_sel_hi:[1,0]
	v_pk_fma_f32 v[8:9], v[12:13], v[8:9], v[14:15] op_sel:[0,0,1] op_sel_hi:[1,0,0]
	v_sub_f32_e32 v8, v16, v15
.LBB15_11:                              ;   in Loop: Header=BB15_3 Depth=1
	s_or_b64 exec, exec, s[4:5]
	s_add_i32 s4, s2, -1
	s_add_i32 s2, s2, 1
	s_waitcnt vmcnt(0)
	v_pk_add_f32 v[2:3], v[2:3], v[8:9] neg_lo:[0,1] neg_hi:[0,1]
	s_cmp_lt_u32 s2, 3
	v_subrev_u32_e32 v6, s3, v6
	s_cbranch_scc1 .LBB15_13
; %bb.12:                               ;   in Loop: Header=BB15_3 Depth=1
	s_mov_b32 s2, s4
	s_branch .LBB15_3
.LBB15_13:
	v_cmp_eq_u32_e32 vcc, 0, v10
	s_and_saveexec_b64 s[2:3], vcc
	s_cbranch_execz .LBB15_19
; %bb.14:
	s_load_dwordx2 s[0:1], s[0:1], 0x0
	s_waitcnt lgkmcnt(0)
	v_mov_b32_e32 v4, s1
	v_cmp_lt_f32_e64 s[4:5], s1, 0
	v_mov_b32_e32 v5, s0
	v_cndmask_b32_e64 v4, v4, -v4, s[4:5]
	v_cmp_lt_f32_e64 s[4:5], s0, 0
	v_cndmask_b32_e64 v5, v5, -v5, s[4:5]
	v_cmp_ngt_f32_e32 vcc, v5, v4
	s_cbranch_vccz .LBB15_16
; %bb.15:
	v_mov_b32_e32 v4, s0
	v_div_scale_f32 v5, s[4:5], s1, s1, v4
	v_rcp_f32_e32 v6, v5
	v_mov_b32_e32 v7, s1
	v_fma_f32 v8, -v5, v6, 1.0
	v_fmac_f32_e32 v6, v8, v6
	v_div_scale_f32 v8, vcc, s0, v7, s0
	v_mul_f32_e32 v9, v8, v6
	v_fma_f32 v10, -v5, v9, v8
	v_fmac_f32_e32 v9, v10, v6
	v_fma_f32 v5, -v5, v9, v8
	v_div_fmas_f32 v5, v5, v6, v9
	v_div_fixup_f32 v5, v5, s1, v4
	v_fma_f32 v4, s0, v5, v7
	v_div_scale_f32 v6, s[4:5], v4, v4, 1.0
	v_rcp_f32_e32 v7, v6
	v_fma_f32 v8, -v6, v7, 1.0
	v_fmac_f32_e32 v7, v8, v7
	v_div_scale_f32 v8, vcc, 1.0, v4, 1.0
	v_mul_f32_e32 v9, v8, v7
	v_fma_f32 v10, -v6, v9, v8
	v_fmac_f32_e32 v9, v10, v7
	v_fma_f32 v6, -v6, v9, v8
	v_div_fmas_f32 v6, v6, v7, v9
	v_div_fixup_f32 v6, v6, v4, 1.0
	s_waitcnt vmcnt(0)
	v_fma_f32 v4, v2, v5, v3
	v_fma_f32 v5, v3, v5, -v2
	v_mul_f32_e32 v4, v4, v6
	v_mul_f32_e32 v5, v5, v6
	s_cbranch_execz .LBB15_17
	s_branch .LBB15_18
.LBB15_16:
                                        ; implicit-def: $vgpr4
                                        ; implicit-def: $vgpr5
.LBB15_17:
	v_mov_b32_e32 v4, s1
	v_div_scale_f32 v5, s[4:5], s0, s0, v4
	v_rcp_f32_e32 v6, v5
	v_mov_b32_e32 v7, s0
	v_fma_f32 v8, -v5, v6, 1.0
	v_fmac_f32_e32 v6, v8, v6
	v_div_scale_f32 v8, vcc, s1, v7, s1
	v_mul_f32_e32 v9, v8, v6
	v_fma_f32 v10, -v5, v9, v8
	v_fmac_f32_e32 v9, v10, v6
	v_fma_f32 v5, -v5, v9, v8
	v_div_fmas_f32 v5, v5, v6, v9
	v_div_fixup_f32 v5, v5, s0, v4
	v_fma_f32 v4, s1, v5, v7
	v_div_scale_f32 v6, s[0:1], v4, v4, 1.0
	v_rcp_f32_e32 v7, v6
	v_fma_f32 v8, -v6, v7, 1.0
	v_fmac_f32_e32 v7, v8, v7
	v_div_scale_f32 v8, vcc, 1.0, v4, 1.0
	v_mul_f32_e32 v9, v8, v7
	v_fma_f32 v10, -v6, v9, v8
	v_fmac_f32_e32 v9, v10, v7
	v_fma_f32 v6, -v6, v9, v8
	v_div_fmas_f32 v6, v6, v7, v9
	v_div_fixup_f32 v6, v6, v4, 1.0
	s_waitcnt vmcnt(0)
	v_fma_f32 v4, v3, v5, v2
	v_fma_f32 v2, -v2, v5, v3
	v_mul_f32_e32 v4, v4, v6
	v_mul_f32_e32 v5, v2, v6
.LBB15_18:
	s_waitcnt vmcnt(0)
	v_mov_b32_e32 v3, v5
	v_mov_b32_e32 v2, v4
.LBB15_19:
	s_or_b64 exec, exec, s[2:3]
	s_waitcnt vmcnt(0)
	global_store_dwordx2 v[0:1], v[2:3], off
.LBB15_20:
	s_endpgm
	.section	.rodata,"a",@progbits
	.p2align	6, 0x0
	.amdhsa_kernel _ZN9rocsolver6v33100L36nonunit_backward_substitution_kernelI19rocblas_complex_numIfEiPKPS3_EEvT0_S7_T1_S7_S7_llS8_S7_S7_ll
		.amdhsa_group_segment_fixed_size 0
		.amdhsa_private_segment_fixed_size 0
		.amdhsa_kernarg_size 328
		.amdhsa_user_sgpr_count 6
		.amdhsa_user_sgpr_private_segment_buffer 1
		.amdhsa_user_sgpr_dispatch_ptr 0
		.amdhsa_user_sgpr_queue_ptr 0
		.amdhsa_user_sgpr_kernarg_segment_ptr 1
		.amdhsa_user_sgpr_dispatch_id 0
		.amdhsa_user_sgpr_flat_scratch_init 0
		.amdhsa_user_sgpr_kernarg_preload_length 0
		.amdhsa_user_sgpr_kernarg_preload_offset 0
		.amdhsa_user_sgpr_private_segment_size 0
		.amdhsa_uses_dynamic_stack 0
		.amdhsa_system_sgpr_private_segment_wavefront_offset 0
		.amdhsa_system_sgpr_workgroup_id_x 1
		.amdhsa_system_sgpr_workgroup_id_y 1
		.amdhsa_system_sgpr_workgroup_id_z 1
		.amdhsa_system_sgpr_workgroup_info 0
		.amdhsa_system_vgpr_workitem_id 1
		.amdhsa_next_free_vgpr 18
		.amdhsa_next_free_sgpr 18
		.amdhsa_accum_offset 20
		.amdhsa_reserve_vcc 1
		.amdhsa_reserve_flat_scratch 0
		.amdhsa_float_round_mode_32 0
		.amdhsa_float_round_mode_16_64 0
		.amdhsa_float_denorm_mode_32 3
		.amdhsa_float_denorm_mode_16_64 3
		.amdhsa_dx10_clamp 1
		.amdhsa_ieee_mode 1
		.amdhsa_fp16_overflow 0
		.amdhsa_tg_split 0
		.amdhsa_exception_fp_ieee_invalid_op 0
		.amdhsa_exception_fp_denorm_src 0
		.amdhsa_exception_fp_ieee_div_zero 0
		.amdhsa_exception_fp_ieee_overflow 0
		.amdhsa_exception_fp_ieee_underflow 0
		.amdhsa_exception_fp_ieee_inexact 0
		.amdhsa_exception_int_div_zero 0
	.end_amdhsa_kernel
	.section	.text._ZN9rocsolver6v33100L36nonunit_backward_substitution_kernelI19rocblas_complex_numIfEiPKPS3_EEvT0_S7_T1_S7_S7_llS8_S7_S7_ll,"axG",@progbits,_ZN9rocsolver6v33100L36nonunit_backward_substitution_kernelI19rocblas_complex_numIfEiPKPS3_EEvT0_S7_T1_S7_S7_llS8_S7_S7_ll,comdat
.Lfunc_end15:
	.size	_ZN9rocsolver6v33100L36nonunit_backward_substitution_kernelI19rocblas_complex_numIfEiPKPS3_EEvT0_S7_T1_S7_S7_llS8_S7_S7_ll, .Lfunc_end15-_ZN9rocsolver6v33100L36nonunit_backward_substitution_kernelI19rocblas_complex_numIfEiPKPS3_EEvT0_S7_T1_S7_S7_llS8_S7_S7_ll
                                        ; -- End function
	.section	.AMDGPU.csdata,"",@progbits
; Kernel info:
; codeLenInByte = 1384
; NumSgprs: 22
; NumVgprs: 18
; NumAgprs: 0
; TotalNumVgprs: 18
; ScratchSize: 0
; MemoryBound: 0
; FloatMode: 240
; IeeeMode: 1
; LDSByteSize: 0 bytes/workgroup (compile time only)
; SGPRBlocks: 2
; VGPRBlocks: 2
; NumSGPRsForWavesPerEU: 22
; NumVGPRsForWavesPerEU: 18
; AccumOffset: 20
; Occupancy: 8
; WaveLimiterHint : 1
; COMPUTE_PGM_RSRC2:SCRATCH_EN: 0
; COMPUTE_PGM_RSRC2:USER_SGPR: 6
; COMPUTE_PGM_RSRC2:TRAP_HANDLER: 0
; COMPUTE_PGM_RSRC2:TGID_X_EN: 1
; COMPUTE_PGM_RSRC2:TGID_Y_EN: 1
; COMPUTE_PGM_RSRC2:TGID_Z_EN: 1
; COMPUTE_PGM_RSRC2:TIDIG_COMP_CNT: 1
; COMPUTE_PGM_RSRC3_GFX90A:ACCUM_OFFSET: 4
; COMPUTE_PGM_RSRC3_GFX90A:TG_SPLIT: 0
	.section	.text._ZN9rocsolver6v33100L37conj_unit_forward_substitution_kernelI19rocblas_complex_numIfElPS3_EEvT0_S5_T1_S5_S5_llS6_S5_S5_ll,"axG",@progbits,_ZN9rocsolver6v33100L37conj_unit_forward_substitution_kernelI19rocblas_complex_numIfElPS3_EEvT0_S5_T1_S5_S5_llS6_S5_S5_ll,comdat
	.globl	_ZN9rocsolver6v33100L37conj_unit_forward_substitution_kernelI19rocblas_complex_numIfElPS3_EEvT0_S5_T1_S5_S5_llS6_S5_S5_ll ; -- Begin function _ZN9rocsolver6v33100L37conj_unit_forward_substitution_kernelI19rocblas_complex_numIfElPS3_EEvT0_S5_T1_S5_S5_llS6_S5_S5_ll
	.p2align	8
	.type	_ZN9rocsolver6v33100L37conj_unit_forward_substitution_kernelI19rocblas_complex_numIfElPS3_EEvT0_S5_T1_S5_S5_llS6_S5_S5_ll,@function
_ZN9rocsolver6v33100L37conj_unit_forward_substitution_kernelI19rocblas_complex_numIfElPS3_EEvT0_S5_T1_S5_S5_llS6_S5_S5_ll: ; @_ZN9rocsolver6v33100L37conj_unit_forward_substitution_kernelI19rocblas_complex_numIfElPS3_EEvT0_S5_T1_S5_S5_llS6_S5_S5_ll
; %bb.0:
	s_load_dword s0, s[4:5], 0x6c
	s_load_dwordx16 s[12:27], s[4:5], 0x0
	v_mov_b32_e32 v1, 0
	v_bfe_u32 v6, v0, 10, 10
	v_mov_b32_e32 v7, v1
	s_waitcnt lgkmcnt(0)
	s_lshr_b32 s0, s0, 16
	v_mov_b32_e32 v2, s7
	v_mad_u64_u32 v[2:3], s[0:1], s0, v2, v[6:7]
	v_cmp_gt_i64_e32 vcc, s[14:15], v[2:3]
	s_and_saveexec_b64 s[0:1], vcc
	s_cbranch_execz .LBB16_9
; %bb.1:
	s_load_dwordx8 s[0:7], s[4:5], 0x40
	v_and_b32_e32 v0, 0x3ff, v0
	s_waitcnt lgkmcnt(0)
	s_mul_i32 s7, s8, s7
	s_mul_hi_u32 s9, s8, s6
	s_mul_i32 s6, s8, s6
	s_add_i32 s7, s9, s7
	s_lshl_b64 s[6:7], s[6:7], 3
	s_add_u32 s6, s26, s6
	s_addc_u32 s7, s27, s7
	s_lshl_b64 s[4:5], s[4:5], 3
	s_add_u32 s6, s6, s4
	s_addc_u32 s7, s7, s5
	v_mad_u64_u32 v[4:5], s[4:5], v0, s0, 0
	v_mov_b32_e32 v8, v5
	v_mad_u64_u32 v[8:9], s[0:1], v0, s1, v[8:9]
	v_mov_b32_e32 v5, v8
	v_mul_lo_u32 v7, v3, s2
	v_mul_lo_u32 v8, v2, s3
	v_mad_u64_u32 v[2:3], s[0:1], v2, s2, 0
	v_lshlrev_b64 v[4:5], 3, v[4:5]
	v_add3_u32 v3, v3, v8, v7
	v_mov_b32_e32 v7, s7
	v_add_co_u32_e32 v4, vcc, s6, v4
	v_addc_co_u32_e32 v5, vcc, v7, v5, vcc
	v_lshlrev_b64 v[2:3], 3, v[2:3]
	v_add_co_u32_e32 v2, vcc, v4, v2
	v_addc_co_u32_e32 v3, vcc, v5, v3, vcc
	global_load_dwordx2 v[4:5], v[2:3], off
	v_cmp_lt_i64_e64 s[0:1], s[12:13], 2
	s_and_b64 vcc, exec, s[0:1]
	s_cbranch_vccnz .LBB16_8
; %bb.2:
	v_lshl_add_u32 v10, v6, 3, 0
	v_mad_u64_u32 v[6:7], s[4:5], s18, v0, 0
	s_add_u32 s0, s12, -1
	s_mul_i32 s2, s25, s8
	s_mul_hi_u32 s3, s24, s8
	v_mov_b32_e32 v8, v7
	s_addc_u32 s1, s13, -1
	s_add_i32 s3, s3, s2
	s_mul_i32 s2, s24, s8
	v_mad_u64_u32 v[8:9], s[4:5], s19, v0, v[8:9]
	s_lshl_b64 s[2:3], s[2:3], 3
	s_lshl_b64 s[4:5], s[22:23], 3
	s_add_u32 s4, s16, s4
	s_addc_u32 s5, s17, s5
	v_mov_b32_e32 v7, v8
	s_add_u32 s2, s4, s2
	v_lshlrev_b64 v[6:7], 3, v[6:7]
	s_addc_u32 s3, s5, s3
	v_mov_b32_e32 v8, s3
	v_add_co_u32_e32 v6, vcc, s2, v6
	v_addc_co_u32_e32 v7, vcc, v8, v7, vcc
	v_add_co_u32_e32 v6, vcc, 4, v6
	s_lshl_b64 s[2:3], s[20:21], 3
	v_addc_co_u32_e32 v7, vcc, 0, v7, vcc
	s_mov_b64 s[4:5], 0
	v_mov_b32_e32 v11, s3
	s_branch .LBB16_4
.LBB16_3:                               ;   in Loop: Header=BB16_4 Depth=1
	s_or_b64 exec, exec, s[6:7]
	s_add_u32 s4, s4, 1
	s_addc_u32 s5, s5, 0
	v_add_co_u32_e32 v6, vcc, s2, v6
	s_waitcnt vmcnt(0)
	v_pk_add_f32 v[4:5], v[4:5], v[8:9] neg_lo:[0,1] neg_hi:[0,1]
	s_cmp_eq_u64 s[0:1], s[4:5]
	v_addc_co_u32_e32 v7, vcc, v7, v11, vcc
	s_cbranch_scc1 .LBB16_8
.LBB16_4:                               ; =>This Inner Loop Header: Depth=1
	v_cmp_eq_u64_e32 vcc, s[4:5], v[0:1]
	s_barrier
	s_and_saveexec_b64 s[6:7], vcc
	s_cbranch_execz .LBB16_6
; %bb.5:                                ;   in Loop: Header=BB16_4 Depth=1
	s_waitcnt vmcnt(0)
	ds_write_b64 v10, v[4:5]
.LBB16_6:                               ;   in Loop: Header=BB16_4 Depth=1
	s_or_b64 exec, exec, s[6:7]
	v_cmp_lt_u64_e32 vcc, s[4:5], v[0:1]
	v_mov_b32_e32 v8, 0
	v_mov_b32_e32 v9, 0
	s_waitcnt lgkmcnt(0)
	s_barrier
	s_and_saveexec_b64 s[6:7], vcc
	s_cbranch_execz .LBB16_3
; %bb.7:                                ;   in Loop: Header=BB16_4 Depth=1
	global_load_dwordx2 v[8:9], v[6:7], off offset:-4
	ds_read_b64 v[12:13], v10
	s_waitcnt vmcnt(0) lgkmcnt(0)
	v_pk_mul_f32 v[16:17], v[8:9], v[12:13] op_sel:[1,0]
	v_pk_mul_f32 v[14:15], v[8:9], v[12:13] op_sel_hi:[0,1]
	v_pk_fma_f32 v[8:9], v[8:9], v[12:13], v[16:17] op_sel:[0,0,1] op_sel_hi:[0,1,0] neg_lo:[0,0,1] neg_hi:[0,0,1]
	v_add_f32_e32 v8, v14, v17
	s_branch .LBB16_3
.LBB16_8:
	s_waitcnt vmcnt(0)
	global_store_dwordx2 v[2:3], v[4:5], off
.LBB16_9:
	s_endpgm
	.section	.rodata,"a",@progbits
	.p2align	6, 0x0
	.amdhsa_kernel _ZN9rocsolver6v33100L37conj_unit_forward_substitution_kernelI19rocblas_complex_numIfElPS3_EEvT0_S5_T1_S5_S5_llS6_S5_S5_ll
		.amdhsa_group_segment_fixed_size 0
		.amdhsa_private_segment_fixed_size 0
		.amdhsa_kernarg_size 352
		.amdhsa_user_sgpr_count 6
		.amdhsa_user_sgpr_private_segment_buffer 1
		.amdhsa_user_sgpr_dispatch_ptr 0
		.amdhsa_user_sgpr_queue_ptr 0
		.amdhsa_user_sgpr_kernarg_segment_ptr 1
		.amdhsa_user_sgpr_dispatch_id 0
		.amdhsa_user_sgpr_flat_scratch_init 0
		.amdhsa_user_sgpr_kernarg_preload_length 0
		.amdhsa_user_sgpr_kernarg_preload_offset 0
		.amdhsa_user_sgpr_private_segment_size 0
		.amdhsa_uses_dynamic_stack 0
		.amdhsa_system_sgpr_private_segment_wavefront_offset 0
		.amdhsa_system_sgpr_workgroup_id_x 1
		.amdhsa_system_sgpr_workgroup_id_y 1
		.amdhsa_system_sgpr_workgroup_id_z 1
		.amdhsa_system_sgpr_workgroup_info 0
		.amdhsa_system_vgpr_workitem_id 1
		.amdhsa_next_free_vgpr 18
		.amdhsa_next_free_sgpr 28
		.amdhsa_accum_offset 20
		.amdhsa_reserve_vcc 1
		.amdhsa_reserve_flat_scratch 0
		.amdhsa_float_round_mode_32 0
		.amdhsa_float_round_mode_16_64 0
		.amdhsa_float_denorm_mode_32 3
		.amdhsa_float_denorm_mode_16_64 3
		.amdhsa_dx10_clamp 1
		.amdhsa_ieee_mode 1
		.amdhsa_fp16_overflow 0
		.amdhsa_tg_split 0
		.amdhsa_exception_fp_ieee_invalid_op 0
		.amdhsa_exception_fp_denorm_src 0
		.amdhsa_exception_fp_ieee_div_zero 0
		.amdhsa_exception_fp_ieee_overflow 0
		.amdhsa_exception_fp_ieee_underflow 0
		.amdhsa_exception_fp_ieee_inexact 0
		.amdhsa_exception_int_div_zero 0
	.end_amdhsa_kernel
	.section	.text._ZN9rocsolver6v33100L37conj_unit_forward_substitution_kernelI19rocblas_complex_numIfElPS3_EEvT0_S5_T1_S5_S5_llS6_S5_S5_ll,"axG",@progbits,_ZN9rocsolver6v33100L37conj_unit_forward_substitution_kernelI19rocblas_complex_numIfElPS3_EEvT0_S5_T1_S5_S5_llS6_S5_S5_ll,comdat
.Lfunc_end16:
	.size	_ZN9rocsolver6v33100L37conj_unit_forward_substitution_kernelI19rocblas_complex_numIfElPS3_EEvT0_S5_T1_S5_S5_llS6_S5_S5_ll, .Lfunc_end16-_ZN9rocsolver6v33100L37conj_unit_forward_substitution_kernelI19rocblas_complex_numIfElPS3_EEvT0_S5_T1_S5_S5_llS6_S5_S5_ll
                                        ; -- End function
	.section	.AMDGPU.csdata,"",@progbits
; Kernel info:
; codeLenInByte = 532
; NumSgprs: 32
; NumVgprs: 18
; NumAgprs: 0
; TotalNumVgprs: 18
; ScratchSize: 0
; MemoryBound: 0
; FloatMode: 240
; IeeeMode: 1
; LDSByteSize: 0 bytes/workgroup (compile time only)
; SGPRBlocks: 3
; VGPRBlocks: 2
; NumSGPRsForWavesPerEU: 32
; NumVGPRsForWavesPerEU: 18
; AccumOffset: 20
; Occupancy: 8
; WaveLimiterHint : 0
; COMPUTE_PGM_RSRC2:SCRATCH_EN: 0
; COMPUTE_PGM_RSRC2:USER_SGPR: 6
; COMPUTE_PGM_RSRC2:TRAP_HANDLER: 0
; COMPUTE_PGM_RSRC2:TGID_X_EN: 1
; COMPUTE_PGM_RSRC2:TGID_Y_EN: 1
; COMPUTE_PGM_RSRC2:TGID_Z_EN: 1
; COMPUTE_PGM_RSRC2:TIDIG_COMP_CNT: 1
; COMPUTE_PGM_RSRC3_GFX90A:ACCUM_OFFSET: 4
; COMPUTE_PGM_RSRC3_GFX90A:TG_SPLIT: 0
	.section	.text._ZN9rocsolver6v33100L40conj_nonunit_forward_substitution_kernelI19rocblas_complex_numIfElPS3_EEvT0_S5_T1_S5_S5_llS6_S5_S5_ll,"axG",@progbits,_ZN9rocsolver6v33100L40conj_nonunit_forward_substitution_kernelI19rocblas_complex_numIfElPS3_EEvT0_S5_T1_S5_S5_llS6_S5_S5_ll,comdat
	.globl	_ZN9rocsolver6v33100L40conj_nonunit_forward_substitution_kernelI19rocblas_complex_numIfElPS3_EEvT0_S5_T1_S5_S5_llS6_S5_S5_ll ; -- Begin function _ZN9rocsolver6v33100L40conj_nonunit_forward_substitution_kernelI19rocblas_complex_numIfElPS3_EEvT0_S5_T1_S5_S5_llS6_S5_S5_ll
	.p2align	8
	.type	_ZN9rocsolver6v33100L40conj_nonunit_forward_substitution_kernelI19rocblas_complex_numIfElPS3_EEvT0_S5_T1_S5_S5_llS6_S5_S5_ll,@function
_ZN9rocsolver6v33100L40conj_nonunit_forward_substitution_kernelI19rocblas_complex_numIfElPS3_EEvT0_S5_T1_S5_S5_llS6_S5_S5_ll: ; @_ZN9rocsolver6v33100L40conj_nonunit_forward_substitution_kernelI19rocblas_complex_numIfElPS3_EEvT0_S5_T1_S5_S5_llS6_S5_S5_ll
; %bb.0:
	s_load_dword s0, s[4:5], 0x6c
	s_load_dwordx16 s[12:27], s[4:5], 0x0
	v_mov_b32_e32 v5, 0
	v_bfe_u32 v8, v0, 10, 10
	v_mov_b32_e32 v9, v5
	s_waitcnt lgkmcnt(0)
	s_lshr_b32 s0, s0, 16
	v_mov_b32_e32 v1, s7
	v_mad_u64_u32 v[2:3], s[0:1], s0, v1, v[8:9]
	v_cmp_gt_i64_e32 vcc, s[14:15], v[2:3]
	s_and_saveexec_b64 s[0:1], vcc
	s_cbranch_execz .LBB17_19
; %bb.1:
	s_mul_i32 s0, s8, s25
	s_mul_hi_u32 s1, s8, s24
	s_load_dwordx8 s[36:43], s[4:5], 0x40
	s_add_i32 s1, s1, s0
	s_mul_i32 s0, s8, s24
	s_lshl_b64 s[2:3], s[0:1], 3
	s_add_u32 s0, s16, s2
	s_addc_u32 s1, s17, s3
	s_lshl_b64 s[4:5], s[22:23], 3
	s_add_u32 s10, s0, s4
	s_addc_u32 s11, s1, s5
	s_waitcnt lgkmcnt(0)
	s_mul_i32 s0, s8, s43
	s_mul_hi_u32 s1, s8, s42
	s_add_i32 s1, s1, s0
	s_mul_i32 s0, s8, s42
	s_lshl_b64 s[0:1], s[0:1], 3
	s_add_u32 s6, s26, s0
	s_addc_u32 s7, s27, s1
	s_lshl_b64 s[0:1], s[40:41], 3
	v_and_b32_e32 v4, 0x3ff, v0
	s_add_u32 s6, s6, s0
	s_addc_u32 s7, s7, s1
	v_mad_u64_u32 v[0:1], s[0:1], v4, s36, 0
	v_mov_b32_e32 v6, v1
	v_mad_u64_u32 v[6:7], s[0:1], v4, s37, v[6:7]
	v_mov_b32_e32 v1, v6
	v_mul_lo_u32 v6, v3, s38
	v_mul_lo_u32 v7, v2, s39
	v_mad_u64_u32 v[2:3], s[0:1], v2, s38, 0
	v_lshlrev_b64 v[0:1], 3, v[0:1]
	v_add3_u32 v3, v3, v7, v6
	v_mov_b32_e32 v6, s7
	v_add_co_u32_e32 v7, vcc, s6, v0
	v_addc_co_u32_e32 v6, vcc, v6, v1, vcc
	v_lshlrev_b64 v[0:1], 3, v[2:3]
	v_add_co_u32_e32 v0, vcc, v7, v0
	v_addc_co_u32_e32 v1, vcc, v6, v1, vcc
	global_load_dwordx2 v[2:3], v[0:1], off
	s_add_u32 s0, s12, -1
	v_cmp_lt_i64_e64 s[6:7], s[12:13], 2
	s_addc_u32 s1, s13, -1
	s_and_b64 vcc, exec, s[6:7]
	s_cbranch_vccnz .LBB17_12
; %bb.2:
	s_add_u32 s6, s20, s18
	v_mad_u64_u32 v[6:7], s[6:7], s6, v4, 0
	s_addc_u32 s8, s21, s19
	v_mov_b32_e32 v10, v7
	v_mad_u64_u32 v[10:11], s[6:7], s8, v4, v[10:11]
	v_mov_b32_e32 v7, v10
	v_lshlrev_b64 v[6:7], 3, v[6:7]
	v_mov_b32_e32 v9, s11
	v_add_co_u32_e32 v6, vcc, s10, v6
	v_addc_co_u32_e32 v7, vcc, v9, v7, vcc
	v_lshl_add_u32 v12, v8, 3, 0
	v_mad_u64_u32 v[8:9], s[6:7], s18, v4, 0
	v_mov_b32_e32 v10, v9
	s_add_u32 s4, s16, s4
	v_mad_u64_u32 v[10:11], s[6:7], s19, v4, v[10:11]
	s_addc_u32 s5, s17, s5
	v_mov_b32_e32 v9, v10
	s_add_u32 s2, s4, s2
	v_lshlrev_b64 v[8:9], 3, v[8:9]
	s_addc_u32 s3, s5, s3
	v_mov_b32_e32 v10, s3
	v_add_co_u32_e32 v8, vcc, s2, v8
	v_addc_co_u32_e32 v9, vcc, v10, v9, vcc
	v_add_co_u32_e32 v8, vcc, 4, v8
	v_addc_co_u32_e32 v9, vcc, 0, v9, vcc
	s_lshl_b64 s[2:3], s[20:21], 3
	s_mov_b64 s[4:5], 0
	s_branch .LBB17_4
.LBB17_3:                               ;   in Loop: Header=BB17_4 Depth=1
	s_or_b64 exec, exec, s[6:7]
	s_add_u32 s4, s4, 1
	s_waitcnt vmcnt(0)
	v_pk_add_f32 v[2:3], v[2:3], v[10:11] neg_lo:[0,1] neg_hi:[0,1]
	s_addc_u32 s5, s5, 0
	v_mov_b32_e32 v10, s3
	v_add_co_u32_e32 v8, vcc, s2, v8
	s_cmp_eq_u64 s[0:1], s[4:5]
	v_addc_co_u32_e32 v9, vcc, v9, v10, vcc
	s_cbranch_scc1 .LBB17_12
.LBB17_4:                               ; =>This Inner Loop Header: Depth=1
	v_cmp_eq_u64_e32 vcc, s[4:5], v[4:5]
	s_barrier
	s_and_saveexec_b64 s[6:7], vcc
	s_cbranch_execz .LBB17_10
; %bb.5:                                ;   in Loop: Header=BB17_4 Depth=1
	global_load_dwordx2 v[10:11], v[6:7], off
	s_waitcnt vmcnt(0)
	v_cmp_gt_f32_e32 vcc, 0, v10
	v_cndmask_b32_e64 v13, v10, -v10, vcc
	v_cmp_lt_f32_e32 vcc, 0, v11
	v_cndmask_b32_e64 v14, -v11, v11, vcc
	v_cmp_ngt_f32_e32 vcc, v13, v14
	s_and_saveexec_b64 s[8:9], vcc
	s_xor_b64 s[8:9], exec, s[8:9]
	s_cbranch_execz .LBB17_7
; %bb.6:                                ;   in Loop: Header=BB17_4 Depth=1
	v_div_scale_f32 v13, s[12:13], -v11, -v11, v10
	v_rcp_f32_e32 v14, v13
	v_div_scale_f32 v15, vcc, v10, -v11, v10
	v_fma_f32 v16, -v13, v14, 1.0
	v_fmac_f32_e32 v14, v16, v14
	v_mul_f32_e32 v16, v15, v14
	v_fma_f32 v17, -v13, v16, v15
	v_fmac_f32_e32 v16, v17, v14
	v_fma_f32 v13, -v13, v16, v15
	v_div_fmas_f32 v13, v13, v14, v16
	v_div_fixup_f32 v13, v13, -v11, v10
	v_fma_f32 v10, v10, v13, -v11
	v_div_scale_f32 v11, s[12:13], v10, v10, 1.0
	v_rcp_f32_e32 v14, v11
	v_fma_f32 v15, -v11, v14, 1.0
	v_fmac_f32_e32 v14, v15, v14
	v_div_scale_f32 v15, vcc, 1.0, v10, 1.0
	v_mul_f32_e32 v16, v15, v14
	v_fma_f32 v17, -v11, v16, v15
	v_fmac_f32_e32 v16, v17, v14
	v_fma_f32 v11, -v11, v16, v15
	v_div_fmas_f32 v11, v11, v14, v16
	v_div_fixup_f32 v11, v11, v10, 1.0
	v_fma_f32 v10, v2, v13, v3
	v_fma_f32 v3, v3, v13, -v2
	v_mov_b32_e32 v2, v11
	v_pk_mul_f32 v[2:3], v[10:11], v[2:3]
                                        ; implicit-def: $vgpr10_vgpr11
.LBB17_7:                               ;   in Loop: Header=BB17_4 Depth=1
	s_andn2_saveexec_b64 s[8:9], s[8:9]
	s_cbranch_execz .LBB17_9
; %bb.8:                                ;   in Loop: Header=BB17_4 Depth=1
	v_div_scale_f32 v13, s[12:13], v10, v10, -v11
	v_rcp_f32_e32 v14, v13
	v_div_scale_f32 v15, vcc, -v11, v10, -v11
	v_fma_f32 v16, -v13, v14, 1.0
	v_fmac_f32_e32 v14, v16, v14
	v_mul_f32_e32 v16, v15, v14
	v_fma_f32 v17, -v13, v16, v15
	v_fmac_f32_e32 v16, v17, v14
	v_fma_f32 v13, -v13, v16, v15
	v_div_fmas_f32 v13, v13, v14, v16
	v_div_fixup_f32 v14, v13, v10, -v11
	v_fma_f32 v10, -v11, v14, v10
	v_div_scale_f32 v11, s[12:13], v10, v10, 1.0
	v_rcp_f32_e32 v13, v11
	v_fma_f32 v15, -v11, v13, 1.0
	v_fmac_f32_e32 v13, v15, v13
	v_div_scale_f32 v15, vcc, 1.0, v10, 1.0
	v_mul_f32_e32 v16, v15, v13
	v_fma_f32 v17, -v11, v16, v15
	v_fmac_f32_e32 v16, v17, v13
	v_fma_f32 v11, -v11, v16, v15
	v_pk_mul_f32 v[14:15], v[2:3], v[14:15] op_sel_hi:[1,0]
	v_div_fmas_f32 v11, v11, v13, v16
	v_pk_add_f32 v[16:17], v[2:3], v[14:15] op_sel:[0,1] op_sel_hi:[1,0]
	v_pk_add_f32 v[2:3], v[2:3], v[14:15] op_sel:[0,1] op_sel_hi:[1,0] neg_lo:[0,1] neg_hi:[0,1]
	v_div_fixup_f32 v10, v11, v10, 1.0
	v_mov_b32_e32 v17, v3
	v_pk_mul_f32 v[2:3], v[16:17], v[10:11] op_sel_hi:[1,0]
.LBB17_9:                               ;   in Loop: Header=BB17_4 Depth=1
	s_or_b64 exec, exec, s[8:9]
	ds_write_b64 v12, v[2:3]
.LBB17_10:                              ;   in Loop: Header=BB17_4 Depth=1
	s_or_b64 exec, exec, s[6:7]
	v_mov_b32_e32 v10, 0
	v_cmp_lt_u64_e32 vcc, s[4:5], v[4:5]
	v_mov_b32_e32 v11, v10
	s_waitcnt lgkmcnt(0)
	s_barrier
	s_and_saveexec_b64 s[6:7], vcc
	s_cbranch_execz .LBB17_3
; %bb.11:                               ;   in Loop: Header=BB17_4 Depth=1
	global_load_dwordx2 v[10:11], v[8:9], off offset:-4
	ds_read_b64 v[14:15], v12
	s_waitcnt vmcnt(0) lgkmcnt(0)
	v_pk_mul_f32 v[18:19], v[10:11], v[14:15] op_sel:[1,0]
	v_pk_mul_f32 v[16:17], v[10:11], v[14:15] op_sel_hi:[0,1]
	v_pk_fma_f32 v[10:11], v[10:11], v[14:15], v[18:19] op_sel:[0,0,1] op_sel_hi:[0,1,0] neg_lo:[0,0,1] neg_hi:[0,0,1]
	v_add_f32_e32 v10, v16, v19
	s_branch .LBB17_3
.LBB17_12:
	v_cmp_eq_u64_e32 vcc, s[0:1], v[4:5]
	s_and_saveexec_b64 s[0:1], vcc
	s_cbranch_execz .LBB17_18
; %bb.13:
	s_add_u32 s2, s20, s18
	v_mad_u64_u32 v[6:7], s[2:3], s2, v4, 0
	s_addc_u32 s4, s21, s19
	v_mov_b32_e32 v8, v7
	v_mad_u64_u32 v[4:5], s[2:3], s4, v4, v[8:9]
	v_mov_b32_e32 v7, v4
	v_lshlrev_b64 v[4:5], 3, v[6:7]
	v_mov_b32_e32 v6, s11
	v_add_co_u32_e32 v4, vcc, s10, v4
	v_addc_co_u32_e32 v5, vcc, v6, v5, vcc
	global_load_dwordx2 v[4:5], v[4:5], off
	s_waitcnt vmcnt(0)
	v_cmp_gt_f32_e32 vcc, 0, v4
	v_cndmask_b32_e64 v6, v4, -v4, vcc
	v_cmp_lt_f32_e32 vcc, 0, v5
	v_cndmask_b32_e64 v7, -v5, v5, vcc
	v_cmp_ngt_f32_e32 vcc, v6, v7
	s_and_saveexec_b64 s[2:3], vcc
	s_xor_b64 s[2:3], exec, s[2:3]
	s_cbranch_execz .LBB17_15
; %bb.14:
	v_div_scale_f32 v6, s[4:5], -v5, -v5, v4
	v_rcp_f32_e32 v7, v6
	v_div_scale_f32 v8, vcc, v4, -v5, v4
	v_fma_f32 v9, -v6, v7, 1.0
	v_fmac_f32_e32 v7, v9, v7
	v_mul_f32_e32 v9, v8, v7
	v_fma_f32 v10, -v6, v9, v8
	v_fmac_f32_e32 v9, v10, v7
	v_fma_f32 v6, -v6, v9, v8
	v_div_fmas_f32 v6, v6, v7, v9
	v_div_fixup_f32 v6, v6, -v5, v4
	v_fma_f32 v4, v4, v6, -v5
	v_div_scale_f32 v5, s[4:5], v4, v4, 1.0
	v_rcp_f32_e32 v7, v5
	v_fma_f32 v8, -v5, v7, 1.0
	v_fmac_f32_e32 v7, v8, v7
	v_div_scale_f32 v8, vcc, 1.0, v4, 1.0
	v_mul_f32_e32 v9, v8, v7
	v_fma_f32 v10, -v5, v9, v8
	v_fmac_f32_e32 v9, v10, v7
	v_fma_f32 v5, -v5, v9, v8
	v_div_fmas_f32 v5, v5, v7, v9
	v_div_fixup_f32 v5, v5, v4, 1.0
	v_fma_f32 v4, v2, v6, v3
	v_fma_f32 v3, v3, v6, -v2
	v_mov_b32_e32 v2, v5
	v_pk_mul_f32 v[2:3], v[4:5], v[2:3]
                                        ; implicit-def: $vgpr4_vgpr5
.LBB17_15:
	s_andn2_saveexec_b64 s[2:3], s[2:3]
	s_cbranch_execz .LBB17_17
; %bb.16:
	v_div_scale_f32 v6, s[4:5], v4, v4, -v5
	v_rcp_f32_e32 v7, v6
	v_div_scale_f32 v8, vcc, -v5, v4, -v5
	v_fma_f32 v9, -v6, v7, 1.0
	v_fmac_f32_e32 v7, v9, v7
	v_mul_f32_e32 v9, v8, v7
	v_fma_f32 v10, -v6, v9, v8
	v_fmac_f32_e32 v9, v10, v7
	v_fma_f32 v6, -v6, v9, v8
	v_div_fmas_f32 v6, v6, v7, v9
	v_div_fixup_f32 v6, v6, v4, -v5
	v_fma_f32 v4, -v5, v6, v4
	v_div_scale_f32 v5, s[4:5], v4, v4, 1.0
	v_rcp_f32_e32 v7, v5
	v_fma_f32 v8, -v5, v7, 1.0
	v_fmac_f32_e32 v7, v8, v7
	v_div_scale_f32 v8, vcc, 1.0, v4, 1.0
	v_mul_f32_e32 v9, v8, v7
	v_fma_f32 v10, -v5, v9, v8
	v_fmac_f32_e32 v9, v10, v7
	v_fma_f32 v5, -v5, v9, v8
	v_div_fmas_f32 v5, v5, v7, v9
	v_pk_mul_f32 v[6:7], v[2:3], v[6:7] op_sel_hi:[1,0]
	v_pk_add_f32 v[8:9], v[2:3], v[6:7] op_sel:[0,1] op_sel_hi:[1,0]
	v_pk_add_f32 v[2:3], v[2:3], v[6:7] op_sel:[0,1] op_sel_hi:[1,0] neg_lo:[0,1] neg_hi:[0,1]
	v_div_fixup_f32 v4, v5, v4, 1.0
	v_mov_b32_e32 v9, v3
	v_pk_mul_f32 v[2:3], v[8:9], v[4:5] op_sel_hi:[1,0]
.LBB17_17:
	s_or_b64 exec, exec, s[2:3]
.LBB17_18:
	s_or_b64 exec, exec, s[0:1]
	s_waitcnt vmcnt(0)
	global_store_dwordx2 v[0:1], v[2:3], off
.LBB17_19:
	s_endpgm
	.section	.rodata,"a",@progbits
	.p2align	6, 0x0
	.amdhsa_kernel _ZN9rocsolver6v33100L40conj_nonunit_forward_substitution_kernelI19rocblas_complex_numIfElPS3_EEvT0_S5_T1_S5_S5_llS6_S5_S5_ll
		.amdhsa_group_segment_fixed_size 0
		.amdhsa_private_segment_fixed_size 0
		.amdhsa_kernarg_size 352
		.amdhsa_user_sgpr_count 6
		.amdhsa_user_sgpr_private_segment_buffer 1
		.amdhsa_user_sgpr_dispatch_ptr 0
		.amdhsa_user_sgpr_queue_ptr 0
		.amdhsa_user_sgpr_kernarg_segment_ptr 1
		.amdhsa_user_sgpr_dispatch_id 0
		.amdhsa_user_sgpr_flat_scratch_init 0
		.amdhsa_user_sgpr_kernarg_preload_length 0
		.amdhsa_user_sgpr_kernarg_preload_offset 0
		.amdhsa_user_sgpr_private_segment_size 0
		.amdhsa_uses_dynamic_stack 0
		.amdhsa_system_sgpr_private_segment_wavefront_offset 0
		.amdhsa_system_sgpr_workgroup_id_x 1
		.amdhsa_system_sgpr_workgroup_id_y 1
		.amdhsa_system_sgpr_workgroup_id_z 1
		.amdhsa_system_sgpr_workgroup_info 0
		.amdhsa_system_vgpr_workitem_id 1
		.amdhsa_next_free_vgpr 20
		.amdhsa_next_free_sgpr 44
		.amdhsa_accum_offset 20
		.amdhsa_reserve_vcc 1
		.amdhsa_reserve_flat_scratch 0
		.amdhsa_float_round_mode_32 0
		.amdhsa_float_round_mode_16_64 0
		.amdhsa_float_denorm_mode_32 3
		.amdhsa_float_denorm_mode_16_64 3
		.amdhsa_dx10_clamp 1
		.amdhsa_ieee_mode 1
		.amdhsa_fp16_overflow 0
		.amdhsa_tg_split 0
		.amdhsa_exception_fp_ieee_invalid_op 0
		.amdhsa_exception_fp_denorm_src 0
		.amdhsa_exception_fp_ieee_div_zero 0
		.amdhsa_exception_fp_ieee_overflow 0
		.amdhsa_exception_fp_ieee_underflow 0
		.amdhsa_exception_fp_ieee_inexact 0
		.amdhsa_exception_int_div_zero 0
	.end_amdhsa_kernel
	.section	.text._ZN9rocsolver6v33100L40conj_nonunit_forward_substitution_kernelI19rocblas_complex_numIfElPS3_EEvT0_S5_T1_S5_S5_llS6_S5_S5_ll,"axG",@progbits,_ZN9rocsolver6v33100L40conj_nonunit_forward_substitution_kernelI19rocblas_complex_numIfElPS3_EEvT0_S5_T1_S5_S5_llS6_S5_S5_ll,comdat
.Lfunc_end17:
	.size	_ZN9rocsolver6v33100L40conj_nonunit_forward_substitution_kernelI19rocblas_complex_numIfElPS3_EEvT0_S5_T1_S5_S5_llS6_S5_S5_ll, .Lfunc_end17-_ZN9rocsolver6v33100L40conj_nonunit_forward_substitution_kernelI19rocblas_complex_numIfElPS3_EEvT0_S5_T1_S5_S5_llS6_S5_S5_ll
                                        ; -- End function
	.section	.AMDGPU.csdata,"",@progbits
; Kernel info:
; codeLenInByte = 1528
; NumSgprs: 48
; NumVgprs: 20
; NumAgprs: 0
; TotalNumVgprs: 20
; ScratchSize: 0
; MemoryBound: 0
; FloatMode: 240
; IeeeMode: 1
; LDSByteSize: 0 bytes/workgroup (compile time only)
; SGPRBlocks: 5
; VGPRBlocks: 2
; NumSGPRsForWavesPerEU: 48
; NumVGPRsForWavesPerEU: 20
; AccumOffset: 20
; Occupancy: 8
; WaveLimiterHint : 0
; COMPUTE_PGM_RSRC2:SCRATCH_EN: 0
; COMPUTE_PGM_RSRC2:USER_SGPR: 6
; COMPUTE_PGM_RSRC2:TRAP_HANDLER: 0
; COMPUTE_PGM_RSRC2:TGID_X_EN: 1
; COMPUTE_PGM_RSRC2:TGID_Y_EN: 1
; COMPUTE_PGM_RSRC2:TGID_Z_EN: 1
; COMPUTE_PGM_RSRC2:TIDIG_COMP_CNT: 1
; COMPUTE_PGM_RSRC3_GFX90A:ACCUM_OFFSET: 4
; COMPUTE_PGM_RSRC3_GFX90A:TG_SPLIT: 0
	.section	.text._ZN9rocsolver6v33100L32unit_forward_substitution_kernelI19rocblas_complex_numIfElPS3_EEvT0_S5_T1_S5_S5_llS6_S5_S5_ll,"axG",@progbits,_ZN9rocsolver6v33100L32unit_forward_substitution_kernelI19rocblas_complex_numIfElPS3_EEvT0_S5_T1_S5_S5_llS6_S5_S5_ll,comdat
	.globl	_ZN9rocsolver6v33100L32unit_forward_substitution_kernelI19rocblas_complex_numIfElPS3_EEvT0_S5_T1_S5_S5_llS6_S5_S5_ll ; -- Begin function _ZN9rocsolver6v33100L32unit_forward_substitution_kernelI19rocblas_complex_numIfElPS3_EEvT0_S5_T1_S5_S5_llS6_S5_S5_ll
	.p2align	8
	.type	_ZN9rocsolver6v33100L32unit_forward_substitution_kernelI19rocblas_complex_numIfElPS3_EEvT0_S5_T1_S5_S5_llS6_S5_S5_ll,@function
_ZN9rocsolver6v33100L32unit_forward_substitution_kernelI19rocblas_complex_numIfElPS3_EEvT0_S5_T1_S5_S5_llS6_S5_S5_ll: ; @_ZN9rocsolver6v33100L32unit_forward_substitution_kernelI19rocblas_complex_numIfElPS3_EEvT0_S5_T1_S5_S5_llS6_S5_S5_ll
; %bb.0:
	s_load_dword s0, s[4:5], 0x6c
	s_load_dwordx16 s[12:27], s[4:5], 0x0
	v_mov_b32_e32 v1, 0
	v_bfe_u32 v6, v0, 10, 10
	v_mov_b32_e32 v7, v1
	s_waitcnt lgkmcnt(0)
	s_lshr_b32 s0, s0, 16
	v_mov_b32_e32 v2, s7
	v_mad_u64_u32 v[2:3], s[0:1], s0, v2, v[6:7]
	v_cmp_gt_i64_e32 vcc, s[14:15], v[2:3]
	s_and_saveexec_b64 s[0:1], vcc
	s_cbranch_execz .LBB18_9
; %bb.1:
	s_load_dwordx8 s[0:7], s[4:5], 0x40
	v_and_b32_e32 v0, 0x3ff, v0
	s_waitcnt lgkmcnt(0)
	s_mul_i32 s7, s8, s7
	s_mul_hi_u32 s9, s8, s6
	s_mul_i32 s6, s8, s6
	s_add_i32 s7, s9, s7
	s_lshl_b64 s[6:7], s[6:7], 3
	s_add_u32 s6, s26, s6
	s_addc_u32 s7, s27, s7
	s_lshl_b64 s[4:5], s[4:5], 3
	s_add_u32 s6, s6, s4
	s_addc_u32 s7, s7, s5
	v_mad_u64_u32 v[4:5], s[4:5], v0, s0, 0
	v_mov_b32_e32 v8, v5
	v_mad_u64_u32 v[8:9], s[0:1], v0, s1, v[8:9]
	v_mov_b32_e32 v5, v8
	v_mul_lo_u32 v7, v3, s2
	v_mul_lo_u32 v8, v2, s3
	v_mad_u64_u32 v[2:3], s[0:1], v2, s2, 0
	v_lshlrev_b64 v[4:5], 3, v[4:5]
	v_add3_u32 v3, v3, v8, v7
	v_mov_b32_e32 v7, s7
	v_add_co_u32_e32 v4, vcc, s6, v4
	v_addc_co_u32_e32 v5, vcc, v7, v5, vcc
	v_lshlrev_b64 v[2:3], 3, v[2:3]
	v_add_co_u32_e32 v2, vcc, v4, v2
	v_addc_co_u32_e32 v3, vcc, v5, v3, vcc
	global_load_dwordx2 v[4:5], v[2:3], off
	v_cmp_lt_i64_e64 s[0:1], s[12:13], 2
	s_and_b64 vcc, exec, s[0:1]
	s_cbranch_vccnz .LBB18_8
; %bb.2:
	s_mul_i32 s0, s8, s25
	s_mul_hi_u32 s1, s8, s24
	s_add_i32 s1, s1, s0
	s_mul_i32 s0, s8, s24
	s_lshl_b64 s[0:1], s[0:1], 3
	s_add_u32 s2, s16, s0
	s_addc_u32 s3, s17, s1
	s_lshl_b64 s[0:1], s[22:23], 3
	s_add_u32 s2, s2, s0
	s_addc_u32 s3, s3, s1
	v_mad_u64_u32 v[8:9], s[0:1], v0, s18, 0
	v_mov_b32_e32 v10, v9
	v_mad_u64_u32 v[10:11], s[0:1], v0, s19, v[10:11]
	v_mov_b32_e32 v9, v10
	v_lshl_add_u32 v10, v6, 3, 0
	v_lshlrev_b64 v[6:7], 3, v[8:9]
	s_add_u32 s0, s12, -1
	v_mov_b32_e32 v8, s3
	v_add_co_u32_e32 v6, vcc, s2, v6
	s_addc_u32 s1, s13, -1
	s_lshl_b64 s[2:3], s[20:21], 3
	v_addc_co_u32_e32 v7, vcc, v8, v7, vcc
	s_mov_b64 s[4:5], 0
	v_mov_b32_e32 v11, s3
	s_branch .LBB18_4
.LBB18_3:                               ;   in Loop: Header=BB18_4 Depth=1
	s_or_b64 exec, exec, s[6:7]
	s_add_u32 s4, s4, 1
	s_addc_u32 s5, s5, 0
	v_add_co_u32_e32 v6, vcc, s2, v6
	s_waitcnt vmcnt(0)
	v_pk_add_f32 v[4:5], v[4:5], v[8:9] neg_lo:[0,1] neg_hi:[0,1]
	s_cmp_eq_u64 s[0:1], s[4:5]
	v_addc_co_u32_e32 v7, vcc, v7, v11, vcc
	s_cbranch_scc1 .LBB18_8
.LBB18_4:                               ; =>This Inner Loop Header: Depth=1
	v_cmp_eq_u64_e32 vcc, s[4:5], v[0:1]
	s_barrier
	s_and_saveexec_b64 s[6:7], vcc
	s_cbranch_execz .LBB18_6
; %bb.5:                                ;   in Loop: Header=BB18_4 Depth=1
	s_waitcnt vmcnt(0)
	ds_write_b64 v10, v[4:5]
.LBB18_6:                               ;   in Loop: Header=BB18_4 Depth=1
	s_or_b64 exec, exec, s[6:7]
	v_cmp_lt_u64_e32 vcc, s[4:5], v[0:1]
	v_mov_b32_e32 v8, 0
	v_mov_b32_e32 v9, 0
	s_waitcnt lgkmcnt(0)
	s_barrier
	s_and_saveexec_b64 s[6:7], vcc
	s_cbranch_execz .LBB18_3
; %bb.7:                                ;   in Loop: Header=BB18_4 Depth=1
	global_load_dwordx2 v[8:9], v[6:7], off
	ds_read_b64 v[12:13], v10
	s_waitcnt vmcnt(0) lgkmcnt(0)
	v_pk_mul_f32 v[14:15], v[12:13], v[8:9] op_sel:[0,1]
	v_pk_mul_f32 v[16:17], v[12:13], v[8:9] op_sel_hi:[1,0]
	v_pk_fma_f32 v[8:9], v[12:13], v[8:9], v[14:15] op_sel:[0,0,1] op_sel_hi:[1,0,0]
	v_sub_f32_e32 v8, v16, v15
	s_branch .LBB18_3
.LBB18_8:
	s_waitcnt vmcnt(0)
	global_store_dwordx2 v[2:3], v[4:5], off
.LBB18_9:
	s_endpgm
	.section	.rodata,"a",@progbits
	.p2align	6, 0x0
	.amdhsa_kernel _ZN9rocsolver6v33100L32unit_forward_substitution_kernelI19rocblas_complex_numIfElPS3_EEvT0_S5_T1_S5_S5_llS6_S5_S5_ll
		.amdhsa_group_segment_fixed_size 0
		.amdhsa_private_segment_fixed_size 0
		.amdhsa_kernarg_size 352
		.amdhsa_user_sgpr_count 6
		.amdhsa_user_sgpr_private_segment_buffer 1
		.amdhsa_user_sgpr_dispatch_ptr 0
		.amdhsa_user_sgpr_queue_ptr 0
		.amdhsa_user_sgpr_kernarg_segment_ptr 1
		.amdhsa_user_sgpr_dispatch_id 0
		.amdhsa_user_sgpr_flat_scratch_init 0
		.amdhsa_user_sgpr_kernarg_preload_length 0
		.amdhsa_user_sgpr_kernarg_preload_offset 0
		.amdhsa_user_sgpr_private_segment_size 0
		.amdhsa_uses_dynamic_stack 0
		.amdhsa_system_sgpr_private_segment_wavefront_offset 0
		.amdhsa_system_sgpr_workgroup_id_x 1
		.amdhsa_system_sgpr_workgroup_id_y 1
		.amdhsa_system_sgpr_workgroup_id_z 1
		.amdhsa_system_sgpr_workgroup_info 0
		.amdhsa_system_vgpr_workitem_id 1
		.amdhsa_next_free_vgpr 18
		.amdhsa_next_free_sgpr 28
		.amdhsa_accum_offset 20
		.amdhsa_reserve_vcc 1
		.amdhsa_reserve_flat_scratch 0
		.amdhsa_float_round_mode_32 0
		.amdhsa_float_round_mode_16_64 0
		.amdhsa_float_denorm_mode_32 3
		.amdhsa_float_denorm_mode_16_64 3
		.amdhsa_dx10_clamp 1
		.amdhsa_ieee_mode 1
		.amdhsa_fp16_overflow 0
		.amdhsa_tg_split 0
		.amdhsa_exception_fp_ieee_invalid_op 0
		.amdhsa_exception_fp_denorm_src 0
		.amdhsa_exception_fp_ieee_div_zero 0
		.amdhsa_exception_fp_ieee_overflow 0
		.amdhsa_exception_fp_ieee_underflow 0
		.amdhsa_exception_fp_ieee_inexact 0
		.amdhsa_exception_int_div_zero 0
	.end_amdhsa_kernel
	.section	.text._ZN9rocsolver6v33100L32unit_forward_substitution_kernelI19rocblas_complex_numIfElPS3_EEvT0_S5_T1_S5_S5_llS6_S5_S5_ll,"axG",@progbits,_ZN9rocsolver6v33100L32unit_forward_substitution_kernelI19rocblas_complex_numIfElPS3_EEvT0_S5_T1_S5_S5_llS6_S5_S5_ll,comdat
.Lfunc_end18:
	.size	_ZN9rocsolver6v33100L32unit_forward_substitution_kernelI19rocblas_complex_numIfElPS3_EEvT0_S5_T1_S5_S5_llS6_S5_S5_ll, .Lfunc_end18-_ZN9rocsolver6v33100L32unit_forward_substitution_kernelI19rocblas_complex_numIfElPS3_EEvT0_S5_T1_S5_S5_llS6_S5_S5_ll
                                        ; -- End function
	.section	.AMDGPU.csdata,"",@progbits
; Kernel info:
; codeLenInByte = 524
; NumSgprs: 32
; NumVgprs: 18
; NumAgprs: 0
; TotalNumVgprs: 18
; ScratchSize: 0
; MemoryBound: 0
; FloatMode: 240
; IeeeMode: 1
; LDSByteSize: 0 bytes/workgroup (compile time only)
; SGPRBlocks: 3
; VGPRBlocks: 2
; NumSGPRsForWavesPerEU: 32
; NumVGPRsForWavesPerEU: 18
; AccumOffset: 20
; Occupancy: 8
; WaveLimiterHint : 0
; COMPUTE_PGM_RSRC2:SCRATCH_EN: 0
; COMPUTE_PGM_RSRC2:USER_SGPR: 6
; COMPUTE_PGM_RSRC2:TRAP_HANDLER: 0
; COMPUTE_PGM_RSRC2:TGID_X_EN: 1
; COMPUTE_PGM_RSRC2:TGID_Y_EN: 1
; COMPUTE_PGM_RSRC2:TGID_Z_EN: 1
; COMPUTE_PGM_RSRC2:TIDIG_COMP_CNT: 1
; COMPUTE_PGM_RSRC3_GFX90A:ACCUM_OFFSET: 4
; COMPUTE_PGM_RSRC3_GFX90A:TG_SPLIT: 0
	.section	.text._ZN9rocsolver6v33100L35nonunit_forward_substitution_kernelI19rocblas_complex_numIfElPS3_EEvT0_S5_T1_S5_S5_llS6_S5_S5_ll,"axG",@progbits,_ZN9rocsolver6v33100L35nonunit_forward_substitution_kernelI19rocblas_complex_numIfElPS3_EEvT0_S5_T1_S5_S5_llS6_S5_S5_ll,comdat
	.globl	_ZN9rocsolver6v33100L35nonunit_forward_substitution_kernelI19rocblas_complex_numIfElPS3_EEvT0_S5_T1_S5_S5_llS6_S5_S5_ll ; -- Begin function _ZN9rocsolver6v33100L35nonunit_forward_substitution_kernelI19rocblas_complex_numIfElPS3_EEvT0_S5_T1_S5_S5_llS6_S5_S5_ll
	.p2align	8
	.type	_ZN9rocsolver6v33100L35nonunit_forward_substitution_kernelI19rocblas_complex_numIfElPS3_EEvT0_S5_T1_S5_S5_llS6_S5_S5_ll,@function
_ZN9rocsolver6v33100L35nonunit_forward_substitution_kernelI19rocblas_complex_numIfElPS3_EEvT0_S5_T1_S5_S5_llS6_S5_S5_ll: ; @_ZN9rocsolver6v33100L35nonunit_forward_substitution_kernelI19rocblas_complex_numIfElPS3_EEvT0_S5_T1_S5_S5_llS6_S5_S5_ll
; %bb.0:
	s_load_dword s0, s[4:5], 0x6c
	s_load_dwordx16 s[12:27], s[4:5], 0x0
	v_mov_b32_e32 v5, 0
	v_bfe_u32 v8, v0, 10, 10
	v_mov_b32_e32 v9, v5
	s_waitcnt lgkmcnt(0)
	s_lshr_b32 s0, s0, 16
	v_mov_b32_e32 v1, s7
	v_mad_u64_u32 v[2:3], s[0:1], s0, v1, v[8:9]
	v_cmp_gt_i64_e32 vcc, s[14:15], v[2:3]
	s_and_saveexec_b64 s[0:1], vcc
	s_cbranch_execz .LBB19_19
; %bb.1:
	s_load_dwordx8 s[0:7], s[4:5], 0x40
	s_mul_i32 s9, s8, s25
	s_mul_hi_u32 s10, s8, s24
	s_add_i32 s11, s10, s9
	s_mul_i32 s10, s8, s24
	s_lshl_b64 s[10:11], s[10:11], 3
	s_add_u32 s9, s16, s10
	s_addc_u32 s14, s17, s11
	s_lshl_b64 s[10:11], s[22:23], 3
	s_add_u32 s10, s9, s10
	s_waitcnt lgkmcnt(0)
	s_mul_i32 s7, s8, s7
	s_mul_hi_u32 s9, s8, s6
	s_addc_u32 s11, s14, s11
	s_add_i32 s7, s9, s7
	s_mul_i32 s6, s8, s6
	s_lshl_b64 s[6:7], s[6:7], 3
	s_add_u32 s6, s26, s6
	s_addc_u32 s7, s27, s7
	s_lshl_b64 s[4:5], s[4:5], 3
	v_and_b32_e32 v4, 0x3ff, v0
	s_add_u32 s6, s6, s4
	s_addc_u32 s7, s7, s5
	v_mad_u64_u32 v[0:1], s[4:5], v4, s0, 0
	v_mov_b32_e32 v6, v1
	v_mad_u64_u32 v[6:7], s[0:1], v4, s1, v[6:7]
	v_mov_b32_e32 v1, v6
	v_mul_lo_u32 v6, v3, s2
	v_mul_lo_u32 v7, v2, s3
	v_mad_u64_u32 v[2:3], s[0:1], v2, s2, 0
	v_lshlrev_b64 v[0:1], 3, v[0:1]
	v_add3_u32 v3, v3, v7, v6
	v_mov_b32_e32 v6, s7
	v_add_co_u32_e32 v7, vcc, s6, v0
	v_addc_co_u32_e32 v6, vcc, v6, v1, vcc
	v_lshlrev_b64 v[0:1], 3, v[2:3]
	v_add_co_u32_e32 v0, vcc, v7, v0
	v_addc_co_u32_e32 v1, vcc, v6, v1, vcc
	global_load_dwordx2 v[2:3], v[0:1], off
	s_add_u32 s0, s12, -1
	v_cmp_lt_i64_e64 s[2:3], s[12:13], 2
	s_addc_u32 s1, s13, -1
	s_and_b64 vcc, exec, s[2:3]
	s_cbranch_vccnz .LBB19_12
; %bb.2:
	v_mad_u64_u32 v[10:11], s[2:3], v4, s18, 0
	v_mov_b32_e32 v6, v11
	v_mad_u64_u32 v[6:7], s[2:3], v4, s19, v[6:7]
	s_add_u32 s2, s20, s18
	v_mov_b32_e32 v11, v6
	v_mad_u64_u32 v[6:7], s[2:3], s2, v4, 0
	s_addc_u32 s4, s21, s19
	v_mov_b32_e32 v12, v7
	v_mad_u64_u32 v[12:13], s[2:3], s4, v4, v[12:13]
	v_mov_b32_e32 v7, v12
	v_lshlrev_b64 v[6:7], 3, v[6:7]
	v_mov_b32_e32 v9, s11
	v_add_co_u32_e32 v6, vcc, s10, v6
	v_addc_co_u32_e32 v7, vcc, v9, v7, vcc
	v_lshl_add_u32 v12, v8, 3, 0
	v_lshlrev_b64 v[8:9], 3, v[10:11]
	v_mov_b32_e32 v10, s11
	v_add_co_u32_e32 v8, vcc, s10, v8
	v_addc_co_u32_e32 v9, vcc, v10, v9, vcc
	s_lshl_b64 s[2:3], s[20:21], 3
	s_mov_b64 s[4:5], 0
	s_branch .LBB19_4
.LBB19_3:                               ;   in Loop: Header=BB19_4 Depth=1
	s_or_b64 exec, exec, s[6:7]
	s_add_u32 s4, s4, 1
	s_waitcnt vmcnt(0)
	v_pk_add_f32 v[2:3], v[2:3], v[10:11] neg_lo:[0,1] neg_hi:[0,1]
	s_addc_u32 s5, s5, 0
	v_mov_b32_e32 v10, s3
	v_add_co_u32_e32 v8, vcc, s2, v8
	s_cmp_eq_u64 s[0:1], s[4:5]
	v_addc_co_u32_e32 v9, vcc, v9, v10, vcc
	s_cbranch_scc1 .LBB19_12
.LBB19_4:                               ; =>This Inner Loop Header: Depth=1
	v_cmp_eq_u64_e32 vcc, s[4:5], v[4:5]
	s_barrier
	s_and_saveexec_b64 s[6:7], vcc
	s_cbranch_execz .LBB19_10
; %bb.5:                                ;   in Loop: Header=BB19_4 Depth=1
	global_load_dwordx2 v[10:11], v[6:7], off
	s_waitcnt vmcnt(0)
	v_cmp_gt_f32_e32 vcc, 0, v11
	v_cndmask_b32_e64 v13, v11, -v11, vcc
	v_cmp_gt_f32_e32 vcc, 0, v10
	v_cndmask_b32_e64 v14, v10, -v10, vcc
	v_cmp_ngt_f32_e32 vcc, v14, v13
	s_and_saveexec_b64 s[8:9], vcc
	s_xor_b64 s[8:9], exec, s[8:9]
	s_cbranch_execz .LBB19_7
; %bb.6:                                ;   in Loop: Header=BB19_4 Depth=1
	v_div_scale_f32 v13, s[12:13], v11, v11, v10
	v_rcp_f32_e32 v14, v13
	v_div_scale_f32 v15, vcc, v10, v11, v10
	v_fma_f32 v16, -v13, v14, 1.0
	v_fmac_f32_e32 v14, v16, v14
	v_mul_f32_e32 v16, v15, v14
	v_fma_f32 v17, -v13, v16, v15
	v_fmac_f32_e32 v16, v17, v14
	v_fma_f32 v13, -v13, v16, v15
	v_div_fmas_f32 v13, v13, v14, v16
	v_div_fixup_f32 v14, v13, v11, v10
	v_fmac_f32_e32 v11, v10, v14
	v_div_scale_f32 v10, s[12:13], v11, v11, 1.0
	v_rcp_f32_e32 v13, v10
	v_fma_f32 v15, -v10, v13, 1.0
	v_fmac_f32_e32 v13, v15, v13
	v_div_scale_f32 v15, vcc, 1.0, v11, 1.0
	v_mul_f32_e32 v16, v15, v13
	v_fma_f32 v17, -v10, v16, v15
	v_fmac_f32_e32 v16, v17, v13
	v_fma_f32 v10, -v10, v16, v15
	v_div_fmas_f32 v10, v10, v13, v16
	v_pk_fma_f32 v[16:17], v[2:3], v[14:15], v[2:3] op_sel:[0,0,1] op_sel_hi:[1,0,0] neg_lo:[0,0,1] neg_hi:[0,0,1]
	v_pk_fma_f32 v[2:3], v[2:3], v[14:15], v[2:3] op_sel:[0,0,1] op_sel_hi:[1,0,0]
	v_div_fixup_f32 v10, v10, v11, 1.0
	v_mov_b32_e32 v3, v17
	v_pk_mul_f32 v[2:3], v[2:3], v[10:11] op_sel_hi:[1,0]
                                        ; implicit-def: $vgpr10_vgpr11
.LBB19_7:                               ;   in Loop: Header=BB19_4 Depth=1
	s_andn2_saveexec_b64 s[8:9], s[8:9]
	s_cbranch_execz .LBB19_9
; %bb.8:                                ;   in Loop: Header=BB19_4 Depth=1
	v_div_scale_f32 v13, s[12:13], v10, v10, v11
	v_rcp_f32_e32 v14, v13
	v_div_scale_f32 v15, vcc, v11, v10, v11
	v_fma_f32 v16, -v13, v14, 1.0
	v_fmac_f32_e32 v14, v16, v14
	v_mul_f32_e32 v16, v15, v14
	v_fma_f32 v17, -v13, v16, v15
	v_fmac_f32_e32 v16, v17, v14
	v_fma_f32 v13, -v13, v16, v15
	v_div_fmas_f32 v13, v13, v14, v16
	v_div_fixup_f32 v14, v13, v10, v11
	v_fmac_f32_e32 v10, v11, v14
	v_div_scale_f32 v11, s[12:13], v10, v10, 1.0
	v_rcp_f32_e32 v13, v11
	v_fma_f32 v15, -v11, v13, 1.0
	v_fmac_f32_e32 v13, v15, v13
	v_div_scale_f32 v15, vcc, 1.0, v10, 1.0
	v_mul_f32_e32 v16, v15, v13
	v_fma_f32 v17, -v11, v16, v15
	v_fmac_f32_e32 v16, v17, v13
	v_fma_f32 v11, -v11, v16, v15
	v_pk_mul_f32 v[14:15], v[2:3], v[14:15] op_sel_hi:[1,0]
	v_div_fmas_f32 v11, v11, v13, v16
	v_pk_add_f32 v[16:17], v[2:3], v[14:15] op_sel:[0,1] op_sel_hi:[1,0] neg_lo:[0,1] neg_hi:[0,1]
	v_pk_add_f32 v[2:3], v[2:3], v[14:15] op_sel:[0,1] op_sel_hi:[1,0]
	v_div_fixup_f32 v10, v11, v10, 1.0
	v_mov_b32_e32 v3, v17
	v_pk_mul_f32 v[2:3], v[2:3], v[10:11] op_sel_hi:[1,0]
.LBB19_9:                               ;   in Loop: Header=BB19_4 Depth=1
	s_or_b64 exec, exec, s[8:9]
	ds_write_b64 v12, v[2:3]
.LBB19_10:                              ;   in Loop: Header=BB19_4 Depth=1
	s_or_b64 exec, exec, s[6:7]
	v_mov_b32_e32 v10, 0
	v_cmp_lt_u64_e32 vcc, s[4:5], v[4:5]
	v_mov_b32_e32 v11, v10
	s_waitcnt lgkmcnt(0)
	s_barrier
	s_and_saveexec_b64 s[6:7], vcc
	s_cbranch_execz .LBB19_3
; %bb.11:                               ;   in Loop: Header=BB19_4 Depth=1
	global_load_dwordx2 v[10:11], v[8:9], off
	ds_read_b64 v[14:15], v12
	s_waitcnt vmcnt(0) lgkmcnt(0)
	v_pk_mul_f32 v[16:17], v[14:15], v[10:11] op_sel:[0,1]
	v_pk_mul_f32 v[18:19], v[14:15], v[10:11] op_sel_hi:[1,0]
	v_pk_fma_f32 v[10:11], v[14:15], v[10:11], v[16:17] op_sel:[0,0,1] op_sel_hi:[1,0,0]
	v_sub_f32_e32 v10, v18, v17
	s_branch .LBB19_3
.LBB19_12:
	v_cmp_eq_u64_e32 vcc, s[0:1], v[4:5]
	s_and_saveexec_b64 s[0:1], vcc
	s_cbranch_execz .LBB19_18
; %bb.13:
	s_add_u32 s2, s20, s18
	v_mad_u64_u32 v[6:7], s[2:3], s2, v4, 0
	s_addc_u32 s4, s21, s19
	v_mov_b32_e32 v8, v7
	v_mad_u64_u32 v[4:5], s[2:3], s4, v4, v[8:9]
	v_mov_b32_e32 v7, v4
	v_lshlrev_b64 v[4:5], 3, v[6:7]
	v_mov_b32_e32 v6, s11
	v_add_co_u32_e32 v4, vcc, s10, v4
	v_addc_co_u32_e32 v5, vcc, v6, v5, vcc
	global_load_dwordx2 v[4:5], v[4:5], off
	s_waitcnt vmcnt(0)
	v_cmp_gt_f32_e32 vcc, 0, v5
	v_cndmask_b32_e64 v6, v5, -v5, vcc
	v_cmp_gt_f32_e32 vcc, 0, v4
	v_cndmask_b32_e64 v7, v4, -v4, vcc
	v_cmp_ngt_f32_e32 vcc, v7, v6
	s_and_saveexec_b64 s[2:3], vcc
	s_xor_b64 s[2:3], exec, s[2:3]
	s_cbranch_execz .LBB19_15
; %bb.14:
	v_div_scale_f32 v6, s[4:5], v5, v5, v4
	v_rcp_f32_e32 v7, v6
	v_div_scale_f32 v8, vcc, v4, v5, v4
	v_fma_f32 v9, -v6, v7, 1.0
	v_fmac_f32_e32 v7, v9, v7
	v_mul_f32_e32 v9, v8, v7
	v_fma_f32 v10, -v6, v9, v8
	v_fmac_f32_e32 v9, v10, v7
	v_fma_f32 v6, -v6, v9, v8
	v_div_fmas_f32 v6, v6, v7, v9
	v_div_fixup_f32 v6, v6, v5, v4
	v_fmac_f32_e32 v5, v4, v6
	v_div_scale_f32 v4, s[4:5], v5, v5, 1.0
	v_rcp_f32_e32 v7, v4
	v_fma_f32 v8, -v4, v7, 1.0
	v_fmac_f32_e32 v7, v8, v7
	v_div_scale_f32 v8, vcc, 1.0, v5, 1.0
	v_mul_f32_e32 v9, v8, v7
	v_fma_f32 v10, -v4, v9, v8
	v_fmac_f32_e32 v9, v10, v7
	v_fma_f32 v4, -v4, v9, v8
	v_div_fmas_f32 v4, v4, v7, v9
	v_div_fixup_f32 v4, v4, v5, 1.0
	v_fma_f32 v5, v2, v6, v3
	v_mul_f32_e32 v5, v5, v4
	v_fma_f32 v2, v3, v6, -v2
	v_mul_f32_e32 v3, v2, v4
	v_mov_b32_e32 v2, v5
                                        ; implicit-def: $vgpr4_vgpr5
.LBB19_15:
	s_andn2_saveexec_b64 s[2:3], s[2:3]
	s_cbranch_execz .LBB19_17
; %bb.16:
	v_div_scale_f32 v6, s[4:5], v4, v4, v5
	v_rcp_f32_e32 v7, v6
	v_div_scale_f32 v8, vcc, v5, v4, v5
	v_fma_f32 v9, -v6, v7, 1.0
	v_fmac_f32_e32 v7, v9, v7
	v_mul_f32_e32 v9, v8, v7
	v_fma_f32 v10, -v6, v9, v8
	v_fmac_f32_e32 v9, v10, v7
	v_fma_f32 v6, -v6, v9, v8
	v_div_fmas_f32 v6, v6, v7, v9
	v_div_fixup_f32 v6, v6, v4, v5
	v_fmac_f32_e32 v4, v5, v6
	v_div_scale_f32 v5, s[4:5], v4, v4, 1.0
	v_rcp_f32_e32 v7, v5
	v_fma_f32 v8, -v5, v7, 1.0
	v_fmac_f32_e32 v7, v8, v7
	v_div_scale_f32 v8, vcc, 1.0, v4, 1.0
	v_mul_f32_e32 v9, v8, v7
	v_fma_f32 v10, -v5, v9, v8
	v_fmac_f32_e32 v9, v10, v7
	v_fma_f32 v5, -v5, v9, v8
	v_div_fmas_f32 v5, v5, v7, v9
	v_div_fixup_f32 v4, v5, v4, 1.0
	v_fma_f32 v5, v3, v6, v2
	v_mul_f32_e32 v5, v5, v4
	v_fma_f32 v2, -v2, v6, v3
	v_mul_f32_e32 v3, v2, v4
	v_mov_b32_e32 v2, v5
.LBB19_17:
	s_or_b64 exec, exec, s[2:3]
.LBB19_18:
	s_or_b64 exec, exec, s[0:1]
	s_waitcnt vmcnt(0)
	global_store_dwordx2 v[0:1], v[2:3], off
.LBB19_19:
	s_endpgm
	.section	.rodata,"a",@progbits
	.p2align	6, 0x0
	.amdhsa_kernel _ZN9rocsolver6v33100L35nonunit_forward_substitution_kernelI19rocblas_complex_numIfElPS3_EEvT0_S5_T1_S5_S5_llS6_S5_S5_ll
		.amdhsa_group_segment_fixed_size 0
		.amdhsa_private_segment_fixed_size 0
		.amdhsa_kernarg_size 352
		.amdhsa_user_sgpr_count 6
		.amdhsa_user_sgpr_private_segment_buffer 1
		.amdhsa_user_sgpr_dispatch_ptr 0
		.amdhsa_user_sgpr_queue_ptr 0
		.amdhsa_user_sgpr_kernarg_segment_ptr 1
		.amdhsa_user_sgpr_dispatch_id 0
		.amdhsa_user_sgpr_flat_scratch_init 0
		.amdhsa_user_sgpr_kernarg_preload_length 0
		.amdhsa_user_sgpr_kernarg_preload_offset 0
		.amdhsa_user_sgpr_private_segment_size 0
		.amdhsa_uses_dynamic_stack 0
		.amdhsa_system_sgpr_private_segment_wavefront_offset 0
		.amdhsa_system_sgpr_workgroup_id_x 1
		.amdhsa_system_sgpr_workgroup_id_y 1
		.amdhsa_system_sgpr_workgroup_id_z 1
		.amdhsa_system_sgpr_workgroup_info 0
		.amdhsa_system_vgpr_workitem_id 1
		.amdhsa_next_free_vgpr 20
		.amdhsa_next_free_sgpr 28
		.amdhsa_accum_offset 20
		.amdhsa_reserve_vcc 1
		.amdhsa_reserve_flat_scratch 0
		.amdhsa_float_round_mode_32 0
		.amdhsa_float_round_mode_16_64 0
		.amdhsa_float_denorm_mode_32 3
		.amdhsa_float_denorm_mode_16_64 3
		.amdhsa_dx10_clamp 1
		.amdhsa_ieee_mode 1
		.amdhsa_fp16_overflow 0
		.amdhsa_tg_split 0
		.amdhsa_exception_fp_ieee_invalid_op 0
		.amdhsa_exception_fp_denorm_src 0
		.amdhsa_exception_fp_ieee_div_zero 0
		.amdhsa_exception_fp_ieee_overflow 0
		.amdhsa_exception_fp_ieee_underflow 0
		.amdhsa_exception_fp_ieee_inexact 0
		.amdhsa_exception_int_div_zero 0
	.end_amdhsa_kernel
	.section	.text._ZN9rocsolver6v33100L35nonunit_forward_substitution_kernelI19rocblas_complex_numIfElPS3_EEvT0_S5_T1_S5_S5_llS6_S5_S5_ll,"axG",@progbits,_ZN9rocsolver6v33100L35nonunit_forward_substitution_kernelI19rocblas_complex_numIfElPS3_EEvT0_S5_T1_S5_S5_llS6_S5_S5_ll,comdat
.Lfunc_end19:
	.size	_ZN9rocsolver6v33100L35nonunit_forward_substitution_kernelI19rocblas_complex_numIfElPS3_EEvT0_S5_T1_S5_S5_llS6_S5_S5_ll, .Lfunc_end19-_ZN9rocsolver6v33100L35nonunit_forward_substitution_kernelI19rocblas_complex_numIfElPS3_EEvT0_S5_T1_S5_S5_llS6_S5_S5_ll
                                        ; -- End function
	.section	.AMDGPU.csdata,"",@progbits
; Kernel info:
; codeLenInByte = 1480
; NumSgprs: 32
; NumVgprs: 20
; NumAgprs: 0
; TotalNumVgprs: 20
; ScratchSize: 0
; MemoryBound: 0
; FloatMode: 240
; IeeeMode: 1
; LDSByteSize: 0 bytes/workgroup (compile time only)
; SGPRBlocks: 3
; VGPRBlocks: 2
; NumSGPRsForWavesPerEU: 32
; NumVGPRsForWavesPerEU: 20
; AccumOffset: 20
; Occupancy: 8
; WaveLimiterHint : 0
; COMPUTE_PGM_RSRC2:SCRATCH_EN: 0
; COMPUTE_PGM_RSRC2:USER_SGPR: 6
; COMPUTE_PGM_RSRC2:TRAP_HANDLER: 0
; COMPUTE_PGM_RSRC2:TGID_X_EN: 1
; COMPUTE_PGM_RSRC2:TGID_Y_EN: 1
; COMPUTE_PGM_RSRC2:TGID_Z_EN: 1
; COMPUTE_PGM_RSRC2:TIDIG_COMP_CNT: 1
; COMPUTE_PGM_RSRC3_GFX90A:ACCUM_OFFSET: 4
; COMPUTE_PGM_RSRC3_GFX90A:TG_SPLIT: 0
	.section	.text._ZN9rocsolver6v33100L38conj_unit_backward_substitution_kernelI19rocblas_complex_numIfElPS3_EEvT0_S5_T1_S5_S5_llS6_S5_S5_ll,"axG",@progbits,_ZN9rocsolver6v33100L38conj_unit_backward_substitution_kernelI19rocblas_complex_numIfElPS3_EEvT0_S5_T1_S5_S5_llS6_S5_S5_ll,comdat
	.globl	_ZN9rocsolver6v33100L38conj_unit_backward_substitution_kernelI19rocblas_complex_numIfElPS3_EEvT0_S5_T1_S5_S5_llS6_S5_S5_ll ; -- Begin function _ZN9rocsolver6v33100L38conj_unit_backward_substitution_kernelI19rocblas_complex_numIfElPS3_EEvT0_S5_T1_S5_S5_llS6_S5_S5_ll
	.p2align	8
	.type	_ZN9rocsolver6v33100L38conj_unit_backward_substitution_kernelI19rocblas_complex_numIfElPS3_EEvT0_S5_T1_S5_S5_llS6_S5_S5_ll,@function
_ZN9rocsolver6v33100L38conj_unit_backward_substitution_kernelI19rocblas_complex_numIfElPS3_EEvT0_S5_T1_S5_S5_llS6_S5_S5_ll: ; @_ZN9rocsolver6v33100L38conj_unit_backward_substitution_kernelI19rocblas_complex_numIfElPS3_EEvT0_S5_T1_S5_S5_llS6_S5_S5_ll
; %bb.0:
	s_load_dword s0, s[4:5], 0x6c
	s_load_dwordx16 s[12:27], s[4:5], 0x0
	v_mov_b32_e32 v1, 0
	v_bfe_u32 v6, v0, 10, 10
	v_mov_b32_e32 v7, v1
	s_waitcnt lgkmcnt(0)
	s_lshr_b32 s0, s0, 16
	v_mov_b32_e32 v2, s7
	v_mad_u64_u32 v[2:3], s[0:1], s0, v2, v[6:7]
	v_cmp_gt_i64_e32 vcc, s[14:15], v[2:3]
	s_and_saveexec_b64 s[0:1], vcc
	s_cbranch_execz .LBB20_10
; %bb.1:
	s_load_dwordx8 s[0:7], s[4:5], 0x40
	v_and_b32_e32 v0, 0x3ff, v0
	s_waitcnt lgkmcnt(0)
	s_mul_i32 s7, s8, s7
	s_mul_hi_u32 s9, s8, s6
	s_mul_i32 s6, s8, s6
	s_add_i32 s7, s9, s7
	s_lshl_b64 s[6:7], s[6:7], 3
	s_add_u32 s6, s26, s6
	s_addc_u32 s7, s27, s7
	s_lshl_b64 s[4:5], s[4:5], 3
	s_add_u32 s6, s6, s4
	s_addc_u32 s7, s7, s5
	v_mad_u64_u32 v[4:5], s[4:5], v0, s0, 0
	v_mov_b32_e32 v8, v5
	v_mad_u64_u32 v[8:9], s[0:1], v0, s1, v[8:9]
	v_mov_b32_e32 v5, v8
	v_mul_lo_u32 v7, v3, s2
	v_mul_lo_u32 v8, v2, s3
	v_mad_u64_u32 v[2:3], s[0:1], v2, s2, 0
	v_lshlrev_b64 v[4:5], 3, v[4:5]
	v_add3_u32 v3, v3, v8, v7
	v_mov_b32_e32 v7, s7
	v_add_co_u32_e32 v4, vcc, s6, v4
	v_addc_co_u32_e32 v5, vcc, v7, v5, vcc
	v_lshlrev_b64 v[2:3], 3, v[2:3]
	v_add_co_u32_e32 v2, vcc, v4, v2
	v_addc_co_u32_e32 v3, vcc, v5, v3, vcc
	global_load_dwordx2 v[4:5], v[2:3], off
	v_cmp_lt_i64_e64 s[0:1], s[12:13], 2
	s_and_b64 vcc, exec, s[0:1]
	s_cbranch_vccnz .LBB20_9
; %bb.2:
	s_add_u32 s0, s12, -1
	s_addc_u32 s1, s13, -1
	s_mul_i32 s2, s20, s1
	s_mul_hi_u32 s3, s20, s0
	s_add_i32 s2, s3, s2
	s_mul_i32 s3, s21, s0
	s_mul_i32 s4, s25, s8
	s_mul_hi_u32 s5, s24, s8
	s_add_i32 s3, s2, s3
	s_mul_i32 s2, s20, s0
	s_add_i32 s5, s5, s4
	s_mul_i32 s4, s24, s8
	s_lshl_b64 s[2:3], s[2:3], 3
	s_lshl_b64 s[4:5], s[4:5], 3
	s_add_u32 s4, s2, s4
	v_lshl_add_u32 v10, v6, 3, 0
	s_addc_u32 s5, s3, s5
	v_mad_u64_u32 v[6:7], s[2:3], s18, v0, 0
	v_mov_b32_e32 v8, v7
	v_mad_u64_u32 v[8:9], s[2:3], s19, v0, v[8:9]
	s_lshl_b64 s[2:3], s[22:23], 3
	s_add_u32 s2, s16, s2
	s_addc_u32 s3, s17, s3
	v_mov_b32_e32 v7, v8
	s_add_u32 s2, s2, s4
	v_lshlrev_b64 v[6:7], 3, v[6:7]
	s_addc_u32 s3, s3, s5
	v_mov_b32_e32 v8, s3
	v_add_co_u32_e32 v6, vcc, s2, v6
	s_lshl_b64 s[2:3], s[20:21], 3
	v_addc_co_u32_e32 v7, vcc, v8, v7, vcc
	s_sub_u32 s4, 0, s2
	v_add_co_u32_e32 v6, vcc, 4, v6
	s_subb_u32 s2, 0, s3
	v_addc_co_u32_e32 v7, vcc, 0, v7, vcc
	v_mov_b32_e32 v11, s2
.LBB20_3:                               ; =>This Inner Loop Header: Depth=1
	v_cmp_eq_u64_e32 vcc, s[0:1], v[0:1]
	s_barrier
	s_and_saveexec_b64 s[2:3], vcc
	s_cbranch_execz .LBB20_5
; %bb.4:                                ;   in Loop: Header=BB20_3 Depth=1
	s_waitcnt vmcnt(0)
	ds_write_b64 v10, v[4:5]
.LBB20_5:                               ;   in Loop: Header=BB20_3 Depth=1
	s_or_b64 exec, exec, s[2:3]
	v_cmp_gt_i64_e32 vcc, s[0:1], v[0:1]
	v_mov_b32_e32 v8, 0
	v_mov_b32_e32 v9, 0
	s_waitcnt lgkmcnt(0)
	s_barrier
	s_and_saveexec_b64 s[2:3], vcc
	s_cbranch_execz .LBB20_7
; %bb.6:                                ;   in Loop: Header=BB20_3 Depth=1
	global_load_dwordx2 v[8:9], v[6:7], off offset:-4
	ds_read_b64 v[12:13], v10
	s_waitcnt vmcnt(0) lgkmcnt(0)
	v_pk_mul_f32 v[16:17], v[8:9], v[12:13] op_sel:[1,0]
	v_pk_mul_f32 v[14:15], v[8:9], v[12:13] op_sel_hi:[0,1]
	v_pk_fma_f32 v[8:9], v[8:9], v[12:13], v[16:17] op_sel:[0,0,1] op_sel_hi:[0,1,0] neg_lo:[0,0,1] neg_hi:[0,0,1]
	v_add_f32_e32 v8, v14, v17
.LBB20_7:                               ;   in Loop: Header=BB20_3 Depth=1
	s_or_b64 exec, exec, s[2:3]
	s_add_u32 s2, s0, -1
	s_addc_u32 s3, s1, -1
	s_add_u32 s0, s0, 1
	s_addc_u32 s1, s1, 0
	v_add_co_u32_e32 v6, vcc, s4, v6
	v_addc_co_u32_e32 v7, vcc, v7, v11, vcc
	v_cmp_lt_u64_e64 s[0:1], s[0:1], 3
	s_waitcnt vmcnt(0)
	v_pk_add_f32 v[4:5], v[4:5], v[8:9] neg_lo:[0,1] neg_hi:[0,1]
	s_and_b64 vcc, exec, s[0:1]
	s_cbranch_vccnz .LBB20_9
; %bb.8:                                ;   in Loop: Header=BB20_3 Depth=1
	s_mov_b64 s[0:1], s[2:3]
	s_branch .LBB20_3
.LBB20_9:
	s_waitcnt vmcnt(0)
	global_store_dwordx2 v[2:3], v[4:5], off
.LBB20_10:
	s_endpgm
	.section	.rodata,"a",@progbits
	.p2align	6, 0x0
	.amdhsa_kernel _ZN9rocsolver6v33100L38conj_unit_backward_substitution_kernelI19rocblas_complex_numIfElPS3_EEvT0_S5_T1_S5_S5_llS6_S5_S5_ll
		.amdhsa_group_segment_fixed_size 0
		.amdhsa_private_segment_fixed_size 0
		.amdhsa_kernarg_size 352
		.amdhsa_user_sgpr_count 6
		.amdhsa_user_sgpr_private_segment_buffer 1
		.amdhsa_user_sgpr_dispatch_ptr 0
		.amdhsa_user_sgpr_queue_ptr 0
		.amdhsa_user_sgpr_kernarg_segment_ptr 1
		.amdhsa_user_sgpr_dispatch_id 0
		.amdhsa_user_sgpr_flat_scratch_init 0
		.amdhsa_user_sgpr_kernarg_preload_length 0
		.amdhsa_user_sgpr_kernarg_preload_offset 0
		.amdhsa_user_sgpr_private_segment_size 0
		.amdhsa_uses_dynamic_stack 0
		.amdhsa_system_sgpr_private_segment_wavefront_offset 0
		.amdhsa_system_sgpr_workgroup_id_x 1
		.amdhsa_system_sgpr_workgroup_id_y 1
		.amdhsa_system_sgpr_workgroup_id_z 1
		.amdhsa_system_sgpr_workgroup_info 0
		.amdhsa_system_vgpr_workitem_id 1
		.amdhsa_next_free_vgpr 18
		.amdhsa_next_free_sgpr 28
		.amdhsa_accum_offset 20
		.amdhsa_reserve_vcc 1
		.amdhsa_reserve_flat_scratch 0
		.amdhsa_float_round_mode_32 0
		.amdhsa_float_round_mode_16_64 0
		.amdhsa_float_denorm_mode_32 3
		.amdhsa_float_denorm_mode_16_64 3
		.amdhsa_dx10_clamp 1
		.amdhsa_ieee_mode 1
		.amdhsa_fp16_overflow 0
		.amdhsa_tg_split 0
		.amdhsa_exception_fp_ieee_invalid_op 0
		.amdhsa_exception_fp_denorm_src 0
		.amdhsa_exception_fp_ieee_div_zero 0
		.amdhsa_exception_fp_ieee_overflow 0
		.amdhsa_exception_fp_ieee_underflow 0
		.amdhsa_exception_fp_ieee_inexact 0
		.amdhsa_exception_int_div_zero 0
	.end_amdhsa_kernel
	.section	.text._ZN9rocsolver6v33100L38conj_unit_backward_substitution_kernelI19rocblas_complex_numIfElPS3_EEvT0_S5_T1_S5_S5_llS6_S5_S5_ll,"axG",@progbits,_ZN9rocsolver6v33100L38conj_unit_backward_substitution_kernelI19rocblas_complex_numIfElPS3_EEvT0_S5_T1_S5_S5_llS6_S5_S5_ll,comdat
.Lfunc_end20:
	.size	_ZN9rocsolver6v33100L38conj_unit_backward_substitution_kernelI19rocblas_complex_numIfElPS3_EEvT0_S5_T1_S5_S5_llS6_S5_S5_ll, .Lfunc_end20-_ZN9rocsolver6v33100L38conj_unit_backward_substitution_kernelI19rocblas_complex_numIfElPS3_EEvT0_S5_T1_S5_S5_llS6_S5_S5_ll
                                        ; -- End function
	.section	.AMDGPU.csdata,"",@progbits
; Kernel info:
; codeLenInByte = 588
; NumSgprs: 32
; NumVgprs: 18
; NumAgprs: 0
; TotalNumVgprs: 18
; ScratchSize: 0
; MemoryBound: 0
; FloatMode: 240
; IeeeMode: 1
; LDSByteSize: 0 bytes/workgroup (compile time only)
; SGPRBlocks: 3
; VGPRBlocks: 2
; NumSGPRsForWavesPerEU: 32
; NumVGPRsForWavesPerEU: 18
; AccumOffset: 20
; Occupancy: 8
; WaveLimiterHint : 0
; COMPUTE_PGM_RSRC2:SCRATCH_EN: 0
; COMPUTE_PGM_RSRC2:USER_SGPR: 6
; COMPUTE_PGM_RSRC2:TRAP_HANDLER: 0
; COMPUTE_PGM_RSRC2:TGID_X_EN: 1
; COMPUTE_PGM_RSRC2:TGID_Y_EN: 1
; COMPUTE_PGM_RSRC2:TGID_Z_EN: 1
; COMPUTE_PGM_RSRC2:TIDIG_COMP_CNT: 1
; COMPUTE_PGM_RSRC3_GFX90A:ACCUM_OFFSET: 4
; COMPUTE_PGM_RSRC3_GFX90A:TG_SPLIT: 0
	.section	.text._ZN9rocsolver6v33100L41conj_nonunit_backward_substitution_kernelI19rocblas_complex_numIfElPS3_EEvT0_S5_T1_S5_S5_llS6_S5_S5_ll,"axG",@progbits,_ZN9rocsolver6v33100L41conj_nonunit_backward_substitution_kernelI19rocblas_complex_numIfElPS3_EEvT0_S5_T1_S5_S5_llS6_S5_S5_ll,comdat
	.globl	_ZN9rocsolver6v33100L41conj_nonunit_backward_substitution_kernelI19rocblas_complex_numIfElPS3_EEvT0_S5_T1_S5_S5_llS6_S5_S5_ll ; -- Begin function _ZN9rocsolver6v33100L41conj_nonunit_backward_substitution_kernelI19rocblas_complex_numIfElPS3_EEvT0_S5_T1_S5_S5_llS6_S5_S5_ll
	.p2align	8
	.type	_ZN9rocsolver6v33100L41conj_nonunit_backward_substitution_kernelI19rocblas_complex_numIfElPS3_EEvT0_S5_T1_S5_S5_llS6_S5_S5_ll,@function
_ZN9rocsolver6v33100L41conj_nonunit_backward_substitution_kernelI19rocblas_complex_numIfElPS3_EEvT0_S5_T1_S5_S5_llS6_S5_S5_ll: ; @_ZN9rocsolver6v33100L41conj_nonunit_backward_substitution_kernelI19rocblas_complex_numIfElPS3_EEvT0_S5_T1_S5_S5_llS6_S5_S5_ll
; %bb.0:
	s_load_dword s0, s[4:5], 0x6c
	s_load_dwordx16 s[12:27], s[4:5], 0x0
	v_mov_b32_e32 v5, 0
	v_bfe_u32 v8, v0, 10, 10
	v_mov_b32_e32 v9, v5
	s_waitcnt lgkmcnt(0)
	s_lshr_b32 s0, s0, 16
	v_mov_b32_e32 v1, s7
	v_mad_u64_u32 v[2:3], s[0:1], s0, v1, v[8:9]
	v_cmp_gt_i64_e32 vcc, s[14:15], v[2:3]
	s_and_saveexec_b64 s[0:1], vcc
	s_cbranch_execz .LBB21_20
; %bb.1:
	s_load_dwordx8 s[36:43], s[4:5], 0x40
	s_mul_i32 s0, s8, s25
	s_mul_hi_u32 s1, s8, s24
	s_add_i32 s1, s1, s0
	s_mul_i32 s0, s8, s24
	s_lshl_b64 s[6:7], s[0:1], 3
	s_add_u32 s0, s16, s6
	s_addc_u32 s1, s17, s7
	s_lshl_b64 s[4:5], s[22:23], 3
	s_add_u32 s0, s0, s4
	s_waitcnt lgkmcnt(0)
	s_mul_i32 s2, s8, s43
	s_mul_hi_u32 s3, s8, s42
	s_addc_u32 s1, s1, s5
	s_add_i32 s3, s3, s2
	s_mul_i32 s2, s8, s42
	s_lshl_b64 s[2:3], s[2:3], 3
	s_add_u32 s8, s26, s2
	s_addc_u32 s9, s27, s3
	s_lshl_b64 s[2:3], s[40:41], 3
	v_and_b32_e32 v4, 0x3ff, v0
	s_add_u32 s8, s8, s2
	s_addc_u32 s9, s9, s3
	v_mad_u64_u32 v[0:1], s[2:3], v4, s36, 0
	v_mov_b32_e32 v6, v1
	v_mad_u64_u32 v[6:7], s[2:3], v4, s37, v[6:7]
	v_mov_b32_e32 v1, v6
	v_mul_lo_u32 v6, v3, s38
	v_mul_lo_u32 v7, v2, s39
	v_mad_u64_u32 v[2:3], s[2:3], v2, s38, 0
	v_lshlrev_b64 v[0:1], 3, v[0:1]
	v_add3_u32 v3, v3, v7, v6
	v_mov_b32_e32 v6, s9
	v_add_co_u32_e32 v7, vcc, s8, v0
	v_addc_co_u32_e32 v6, vcc, v6, v1, vcc
	v_lshlrev_b64 v[0:1], 3, v[2:3]
	v_add_co_u32_e32 v0, vcc, v7, v0
	v_addc_co_u32_e32 v1, vcc, v6, v1, vcc
	global_load_dwordx2 v[2:3], v[0:1], off
	v_cmp_lt_i64_e64 s[2:3], s[12:13], 2
	s_and_b64 vcc, exec, s[2:3]
	s_cbranch_vccnz .LBB21_13
; %bb.2:
	s_add_u32 s2, s20, s18
	v_mad_u64_u32 v[6:7], s[2:3], s2, v4, 0
	s_addc_u32 s8, s21, s19
	v_mov_b32_e32 v10, v7
	v_mad_u64_u32 v[10:11], s[2:3], s8, v4, v[10:11]
	s_add_u32 s2, s12, -1
	s_addc_u32 s3, s13, -1
	s_mul_i32 s8, s20, s3
	s_mul_hi_u32 s9, s20, s2
	s_add_i32 s8, s9, s8
	s_mul_i32 s9, s21, s2
	v_mov_b32_e32 v7, v10
	s_add_i32 s9, s8, s9
	s_mul_i32 s8, s20, s2
	v_lshlrev_b64 v[6:7], 3, v[6:7]
	s_lshl_b64 s[8:9], s[8:9], 3
	v_mov_b32_e32 v9, s1
	v_add_co_u32_e32 v6, vcc, s0, v6
	s_add_u32 s8, s8, s6
	v_addc_co_u32_e32 v7, vcc, v9, v7, vcc
	v_lshl_add_u32 v12, v8, 3, 0
	s_addc_u32 s9, s9, s7
	v_mad_u64_u32 v[8:9], s[6:7], s18, v4, 0
	v_mov_b32_e32 v10, v9
	s_add_u32 s4, s16, s4
	v_mad_u64_u32 v[10:11], s[6:7], s19, v4, v[10:11]
	s_addc_u32 s5, s17, s5
	v_mov_b32_e32 v9, v10
	s_add_u32 s4, s4, s8
	v_lshlrev_b64 v[8:9], 3, v[8:9]
	s_addc_u32 s5, s5, s9
	v_mov_b32_e32 v10, s5
	v_add_co_u32_e32 v8, vcc, s4, v8
	v_addc_co_u32_e32 v9, vcc, v10, v9, vcc
	s_lshl_b64 s[4:5], s[20:21], 3
	v_add_co_u32_e32 v8, vcc, 4, v8
	s_sub_u32 s8, 0, s4
	v_addc_co_u32_e32 v9, vcc, 0, v9, vcc
	s_subb_u32 s9, 0, s5
.LBB21_3:                               ; =>This Inner Loop Header: Depth=1
	v_cmp_eq_u64_e32 vcc, s[2:3], v[4:5]
	s_barrier
	s_and_saveexec_b64 s[4:5], vcc
	s_cbranch_execz .LBB21_9
; %bb.4:                                ;   in Loop: Header=BB21_3 Depth=1
	global_load_dwordx2 v[10:11], v[6:7], off
	s_waitcnt vmcnt(0)
	v_cmp_gt_f32_e32 vcc, 0, v10
	v_cndmask_b32_e64 v13, v10, -v10, vcc
	v_cmp_lt_f32_e32 vcc, 0, v11
	v_cndmask_b32_e64 v14, -v11, v11, vcc
	v_cmp_ngt_f32_e32 vcc, v13, v14
	s_and_saveexec_b64 s[6:7], vcc
	s_xor_b64 s[6:7], exec, s[6:7]
	s_cbranch_execz .LBB21_6
; %bb.5:                                ;   in Loop: Header=BB21_3 Depth=1
	v_div_scale_f32 v13, s[10:11], -v11, -v11, v10
	v_rcp_f32_e32 v14, v13
	v_div_scale_f32 v15, vcc, v10, -v11, v10
	v_fma_f32 v16, -v13, v14, 1.0
	v_fmac_f32_e32 v14, v16, v14
	v_mul_f32_e32 v16, v15, v14
	v_fma_f32 v17, -v13, v16, v15
	v_fmac_f32_e32 v16, v17, v14
	v_fma_f32 v13, -v13, v16, v15
	v_div_fmas_f32 v13, v13, v14, v16
	v_div_fixup_f32 v13, v13, -v11, v10
	v_fma_f32 v10, v10, v13, -v11
	v_div_scale_f32 v11, s[10:11], v10, v10, 1.0
	v_rcp_f32_e32 v14, v11
	v_fma_f32 v15, -v11, v14, 1.0
	v_fmac_f32_e32 v14, v15, v14
	v_div_scale_f32 v15, vcc, 1.0, v10, 1.0
	v_mul_f32_e32 v16, v15, v14
	v_fma_f32 v17, -v11, v16, v15
	v_fmac_f32_e32 v16, v17, v14
	v_fma_f32 v11, -v11, v16, v15
	v_div_fmas_f32 v11, v11, v14, v16
	v_div_fixup_f32 v11, v11, v10, 1.0
	v_fma_f32 v10, v2, v13, v3
	v_fma_f32 v3, v3, v13, -v2
	v_mov_b32_e32 v2, v11
	v_pk_mul_f32 v[2:3], v[10:11], v[2:3]
                                        ; implicit-def: $vgpr10_vgpr11
.LBB21_6:                               ;   in Loop: Header=BB21_3 Depth=1
	s_andn2_saveexec_b64 s[6:7], s[6:7]
	s_cbranch_execz .LBB21_8
; %bb.7:                                ;   in Loop: Header=BB21_3 Depth=1
	v_div_scale_f32 v13, s[10:11], v10, v10, -v11
	v_rcp_f32_e32 v14, v13
	v_div_scale_f32 v15, vcc, -v11, v10, -v11
	v_fma_f32 v16, -v13, v14, 1.0
	v_fmac_f32_e32 v14, v16, v14
	v_mul_f32_e32 v16, v15, v14
	v_fma_f32 v17, -v13, v16, v15
	v_fmac_f32_e32 v16, v17, v14
	v_fma_f32 v13, -v13, v16, v15
	v_div_fmas_f32 v13, v13, v14, v16
	v_div_fixup_f32 v14, v13, v10, -v11
	v_fma_f32 v10, -v11, v14, v10
	v_div_scale_f32 v11, s[10:11], v10, v10, 1.0
	v_rcp_f32_e32 v13, v11
	v_fma_f32 v15, -v11, v13, 1.0
	v_fmac_f32_e32 v13, v15, v13
	v_div_scale_f32 v15, vcc, 1.0, v10, 1.0
	v_mul_f32_e32 v16, v15, v13
	v_fma_f32 v17, -v11, v16, v15
	v_fmac_f32_e32 v16, v17, v13
	v_fma_f32 v11, -v11, v16, v15
	v_pk_mul_f32 v[14:15], v[2:3], v[14:15] op_sel_hi:[1,0]
	v_div_fmas_f32 v11, v11, v13, v16
	v_pk_add_f32 v[16:17], v[2:3], v[14:15] op_sel:[0,1] op_sel_hi:[1,0]
	v_pk_add_f32 v[2:3], v[2:3], v[14:15] op_sel:[0,1] op_sel_hi:[1,0] neg_lo:[0,1] neg_hi:[0,1]
	v_div_fixup_f32 v10, v11, v10, 1.0
	v_mov_b32_e32 v17, v3
	v_pk_mul_f32 v[2:3], v[16:17], v[10:11] op_sel_hi:[1,0]
.LBB21_8:                               ;   in Loop: Header=BB21_3 Depth=1
	s_or_b64 exec, exec, s[6:7]
	ds_write_b64 v12, v[2:3]
.LBB21_9:                               ;   in Loop: Header=BB21_3 Depth=1
	s_or_b64 exec, exec, s[4:5]
	v_mov_b32_e32 v10, 0
	v_cmp_gt_i64_e32 vcc, s[2:3], v[4:5]
	v_mov_b32_e32 v11, v10
	s_waitcnt lgkmcnt(0)
	s_barrier
	s_and_saveexec_b64 s[4:5], vcc
	s_cbranch_execz .LBB21_11
; %bb.10:                               ;   in Loop: Header=BB21_3 Depth=1
	global_load_dwordx2 v[10:11], v[8:9], off offset:-4
	ds_read_b64 v[14:15], v12
	s_waitcnt vmcnt(0) lgkmcnt(0)
	v_pk_mul_f32 v[18:19], v[10:11], v[14:15] op_sel:[1,0]
	v_pk_mul_f32 v[16:17], v[10:11], v[14:15] op_sel_hi:[0,1]
	v_pk_fma_f32 v[10:11], v[10:11], v[14:15], v[18:19] op_sel:[0,0,1] op_sel_hi:[0,1,0] neg_lo:[0,0,1] neg_hi:[0,0,1]
	v_add_f32_e32 v10, v16, v19
.LBB21_11:                              ;   in Loop: Header=BB21_3 Depth=1
	s_or_b64 exec, exec, s[4:5]
	s_add_u32 s4, s2, -1
	s_addc_u32 s5, s3, -1
	s_add_u32 s2, s2, 1
	s_waitcnt vmcnt(0)
	v_pk_add_f32 v[2:3], v[2:3], v[10:11] neg_lo:[0,1] neg_hi:[0,1]
	s_addc_u32 s3, s3, 0
	v_mov_b32_e32 v10, s9
	v_add_co_u32_e32 v8, vcc, s8, v8
	v_addc_co_u32_e32 v9, vcc, v9, v10, vcc
	v_cmp_lt_u64_e64 s[2:3], s[2:3], 3
	s_and_b64 vcc, exec, s[2:3]
	s_cbranch_vccnz .LBB21_13
; %bb.12:                               ;   in Loop: Header=BB21_3 Depth=1
	s_mov_b64 s[2:3], s[4:5]
	s_branch .LBB21_3
.LBB21_13:
	v_cmp_eq_u32_e32 vcc, 0, v4
	s_and_saveexec_b64 s[2:3], vcc
	s_cbranch_execz .LBB21_19
; %bb.14:
	s_load_dwordx2 s[0:1], s[0:1], 0x0
	s_waitcnt lgkmcnt(0)
	v_mov_b32_e32 v4, s0
	v_cmp_lt_f32_e64 s[4:5], s0, 0
	v_mov_b32_e32 v5, s1
	v_cndmask_b32_e64 v4, v4, -v4, s[4:5]
	v_cmp_gt_f32_e64 s[4:5], s1, 0
	v_cndmask_b32_e64 v5, -v5, v5, s[4:5]
	v_cmp_ngt_f32_e32 vcc, v4, v5
	s_cbranch_vccz .LBB21_16
; %bb.15:
	v_mov_b32_e32 v4, s0
	v_div_scale_f32 v5, s[4:5], -s1, -s1, v4
	v_rcp_f32_e32 v6, v5
	v_mov_b32_e32 v7, s1
	v_fma_f32 v8, -v5, v6, 1.0
	v_fmac_f32_e32 v6, v8, v6
	v_div_scale_f32 v8, vcc, s0, -v7, s0
	v_mul_f32_e32 v9, v8, v6
	v_fma_f32 v10, -v5, v9, v8
	v_fmac_f32_e32 v9, v10, v6
	v_fma_f32 v5, -v5, v9, v8
	v_div_fmas_f32 v5, v5, v6, v9
	v_div_fixup_f32 v6, v5, -s1, v4
	v_fma_f32 v4, s0, v6, -v7
	v_div_scale_f32 v5, s[4:5], v4, v4, 1.0
	v_rcp_f32_e32 v7, v5
	v_fma_f32 v8, -v5, v7, 1.0
	v_fmac_f32_e32 v7, v8, v7
	v_div_scale_f32 v8, vcc, 1.0, v4, 1.0
	v_mul_f32_e32 v9, v8, v7
	v_fma_f32 v10, -v5, v9, v8
	v_fmac_f32_e32 v9, v10, v7
	v_fma_f32 v5, -v5, v9, v8
	v_div_fmas_f32 v5, v5, v7, v9
	v_div_fixup_f32 v5, v5, v4, 1.0
	s_waitcnt vmcnt(0)
	v_fma_f32 v4, v2, v6, v3
	v_fma_f32 v7, v3, v6, -v2
	v_mov_b32_e32 v6, v5
	v_pk_mul_f32 v[4:5], v[4:5], v[6:7]
	s_cbranch_execz .LBB21_17
	s_branch .LBB21_18
.LBB21_16:
                                        ; implicit-def: $vgpr4_vgpr5
.LBB21_17:
	v_mov_b32_e32 v4, s1
	v_div_scale_f32 v5, s[4:5], s0, s0, -v4
	v_rcp_f32_e32 v6, v5
	v_mov_b32_e32 v7, s0
	v_fma_f32 v8, -v5, v6, 1.0
	v_fmac_f32_e32 v6, v8, v6
	v_div_scale_f32 v8, vcc, -s1, v7, -s1
	v_mul_f32_e32 v9, v8, v6
	v_fma_f32 v10, -v5, v9, v8
	v_fmac_f32_e32 v9, v10, v6
	v_fma_f32 v5, -v5, v9, v8
	v_div_fmas_f32 v5, v5, v6, v9
	v_div_fixup_f32 v4, v5, s0, -v4
	v_fma_f32 v5, -s1, v4, v7
	v_div_scale_f32 v6, s[0:1], v5, v5, 1.0
	v_rcp_f32_e32 v7, v6
	v_fma_f32 v8, -v6, v7, 1.0
	v_fmac_f32_e32 v7, v8, v7
	v_div_scale_f32 v8, vcc, 1.0, v5, 1.0
	v_mul_f32_e32 v9, v8, v7
	v_fma_f32 v10, -v6, v9, v8
	v_fmac_f32_e32 v9, v10, v7
	v_fma_f32 v6, -v6, v9, v8
	v_div_fmas_f32 v6, v6, v7, v9
	v_div_fixup_f32 v6, v6, v5, 1.0
	s_waitcnt vmcnt(0)
	v_pk_mul_f32 v[4:5], v[2:3], v[4:5] op_sel_hi:[1,0]
	v_pk_add_f32 v[8:9], v[2:3], v[4:5] op_sel:[0,1] op_sel_hi:[1,0]
	v_pk_add_f32 v[2:3], v[2:3], v[4:5] op_sel:[0,1] op_sel_hi:[1,0] neg_lo:[0,1] neg_hi:[0,1]
	v_mov_b32_e32 v9, v3
	v_pk_mul_f32 v[4:5], v[8:9], v[6:7] op_sel_hi:[1,0]
.LBB21_18:
	s_waitcnt vmcnt(0)
	v_pk_mov_b32 v[2:3], v[4:5], v[4:5] op_sel:[0,1]
.LBB21_19:
	s_or_b64 exec, exec, s[2:3]
	s_waitcnt vmcnt(0)
	global_store_dwordx2 v[0:1], v[2:3], off
.LBB21_20:
	s_endpgm
	.section	.rodata,"a",@progbits
	.p2align	6, 0x0
	.amdhsa_kernel _ZN9rocsolver6v33100L41conj_nonunit_backward_substitution_kernelI19rocblas_complex_numIfElPS3_EEvT0_S5_T1_S5_S5_llS6_S5_S5_ll
		.amdhsa_group_segment_fixed_size 0
		.amdhsa_private_segment_fixed_size 0
		.amdhsa_kernarg_size 352
		.amdhsa_user_sgpr_count 6
		.amdhsa_user_sgpr_private_segment_buffer 1
		.amdhsa_user_sgpr_dispatch_ptr 0
		.amdhsa_user_sgpr_queue_ptr 0
		.amdhsa_user_sgpr_kernarg_segment_ptr 1
		.amdhsa_user_sgpr_dispatch_id 0
		.amdhsa_user_sgpr_flat_scratch_init 0
		.amdhsa_user_sgpr_kernarg_preload_length 0
		.amdhsa_user_sgpr_kernarg_preload_offset 0
		.amdhsa_user_sgpr_private_segment_size 0
		.amdhsa_uses_dynamic_stack 0
		.amdhsa_system_sgpr_private_segment_wavefront_offset 0
		.amdhsa_system_sgpr_workgroup_id_x 1
		.amdhsa_system_sgpr_workgroup_id_y 1
		.amdhsa_system_sgpr_workgroup_id_z 1
		.amdhsa_system_sgpr_workgroup_info 0
		.amdhsa_system_vgpr_workitem_id 1
		.amdhsa_next_free_vgpr 20
		.amdhsa_next_free_sgpr 44
		.amdhsa_accum_offset 20
		.amdhsa_reserve_vcc 1
		.amdhsa_reserve_flat_scratch 0
		.amdhsa_float_round_mode_32 0
		.amdhsa_float_round_mode_16_64 0
		.amdhsa_float_denorm_mode_32 3
		.amdhsa_float_denorm_mode_16_64 3
		.amdhsa_dx10_clamp 1
		.amdhsa_ieee_mode 1
		.amdhsa_fp16_overflow 0
		.amdhsa_tg_split 0
		.amdhsa_exception_fp_ieee_invalid_op 0
		.amdhsa_exception_fp_denorm_src 0
		.amdhsa_exception_fp_ieee_div_zero 0
		.amdhsa_exception_fp_ieee_overflow 0
		.amdhsa_exception_fp_ieee_underflow 0
		.amdhsa_exception_fp_ieee_inexact 0
		.amdhsa_exception_int_div_zero 0
	.end_amdhsa_kernel
	.section	.text._ZN9rocsolver6v33100L41conj_nonunit_backward_substitution_kernelI19rocblas_complex_numIfElPS3_EEvT0_S5_T1_S5_S5_llS6_S5_S5_ll,"axG",@progbits,_ZN9rocsolver6v33100L41conj_nonunit_backward_substitution_kernelI19rocblas_complex_numIfElPS3_EEvT0_S5_T1_S5_S5_llS6_S5_S5_ll,comdat
.Lfunc_end21:
	.size	_ZN9rocsolver6v33100L41conj_nonunit_backward_substitution_kernelI19rocblas_complex_numIfElPS3_EEvT0_S5_T1_S5_S5_llS6_S5_S5_ll, .Lfunc_end21-_ZN9rocsolver6v33100L41conj_nonunit_backward_substitution_kernelI19rocblas_complex_numIfElPS3_EEvT0_S5_T1_S5_S5_llS6_S5_S5_ll
                                        ; -- End function
	.section	.AMDGPU.csdata,"",@progbits
; Kernel info:
; codeLenInByte = 1572
; NumSgprs: 48
; NumVgprs: 20
; NumAgprs: 0
; TotalNumVgprs: 20
; ScratchSize: 0
; MemoryBound: 0
; FloatMode: 240
; IeeeMode: 1
; LDSByteSize: 0 bytes/workgroup (compile time only)
; SGPRBlocks: 5
; VGPRBlocks: 2
; NumSGPRsForWavesPerEU: 48
; NumVGPRsForWavesPerEU: 20
; AccumOffset: 20
; Occupancy: 8
; WaveLimiterHint : 0
; COMPUTE_PGM_RSRC2:SCRATCH_EN: 0
; COMPUTE_PGM_RSRC2:USER_SGPR: 6
; COMPUTE_PGM_RSRC2:TRAP_HANDLER: 0
; COMPUTE_PGM_RSRC2:TGID_X_EN: 1
; COMPUTE_PGM_RSRC2:TGID_Y_EN: 1
; COMPUTE_PGM_RSRC2:TGID_Z_EN: 1
; COMPUTE_PGM_RSRC2:TIDIG_COMP_CNT: 1
; COMPUTE_PGM_RSRC3_GFX90A:ACCUM_OFFSET: 4
; COMPUTE_PGM_RSRC3_GFX90A:TG_SPLIT: 0
	.section	.text._ZN9rocsolver6v33100L33unit_backward_substitution_kernelI19rocblas_complex_numIfElPS3_EEvT0_S5_T1_S5_S5_llS6_S5_S5_ll,"axG",@progbits,_ZN9rocsolver6v33100L33unit_backward_substitution_kernelI19rocblas_complex_numIfElPS3_EEvT0_S5_T1_S5_S5_llS6_S5_S5_ll,comdat
	.globl	_ZN9rocsolver6v33100L33unit_backward_substitution_kernelI19rocblas_complex_numIfElPS3_EEvT0_S5_T1_S5_S5_llS6_S5_S5_ll ; -- Begin function _ZN9rocsolver6v33100L33unit_backward_substitution_kernelI19rocblas_complex_numIfElPS3_EEvT0_S5_T1_S5_S5_llS6_S5_S5_ll
	.p2align	8
	.type	_ZN9rocsolver6v33100L33unit_backward_substitution_kernelI19rocblas_complex_numIfElPS3_EEvT0_S5_T1_S5_S5_llS6_S5_S5_ll,@function
_ZN9rocsolver6v33100L33unit_backward_substitution_kernelI19rocblas_complex_numIfElPS3_EEvT0_S5_T1_S5_S5_llS6_S5_S5_ll: ; @_ZN9rocsolver6v33100L33unit_backward_substitution_kernelI19rocblas_complex_numIfElPS3_EEvT0_S5_T1_S5_S5_llS6_S5_S5_ll
; %bb.0:
	s_load_dword s0, s[4:5], 0x6c
	s_load_dwordx16 s[12:27], s[4:5], 0x0
	v_mov_b32_e32 v1, 0
	v_bfe_u32 v6, v0, 10, 10
	v_mov_b32_e32 v7, v1
	s_waitcnt lgkmcnt(0)
	s_lshr_b32 s0, s0, 16
	v_mov_b32_e32 v2, s7
	v_mad_u64_u32 v[2:3], s[0:1], s0, v2, v[6:7]
	v_cmp_gt_i64_e32 vcc, s[14:15], v[2:3]
	s_and_saveexec_b64 s[0:1], vcc
	s_cbranch_execz .LBB22_10
; %bb.1:
	s_load_dwordx8 s[0:7], s[4:5], 0x40
	v_and_b32_e32 v0, 0x3ff, v0
	s_waitcnt lgkmcnt(0)
	s_mul_i32 s7, s8, s7
	s_mul_hi_u32 s9, s8, s6
	s_mul_i32 s6, s8, s6
	s_add_i32 s7, s9, s7
	s_lshl_b64 s[6:7], s[6:7], 3
	s_add_u32 s6, s26, s6
	s_addc_u32 s7, s27, s7
	s_lshl_b64 s[4:5], s[4:5], 3
	s_add_u32 s6, s6, s4
	s_addc_u32 s7, s7, s5
	v_mad_u64_u32 v[4:5], s[4:5], v0, s0, 0
	v_mov_b32_e32 v8, v5
	v_mad_u64_u32 v[8:9], s[0:1], v0, s1, v[8:9]
	v_mov_b32_e32 v5, v8
	v_mul_lo_u32 v7, v3, s2
	v_mul_lo_u32 v8, v2, s3
	v_mad_u64_u32 v[2:3], s[0:1], v2, s2, 0
	v_lshlrev_b64 v[4:5], 3, v[4:5]
	v_add3_u32 v3, v3, v8, v7
	v_mov_b32_e32 v7, s7
	v_add_co_u32_e32 v4, vcc, s6, v4
	v_addc_co_u32_e32 v5, vcc, v7, v5, vcc
	v_lshlrev_b64 v[2:3], 3, v[2:3]
	v_add_co_u32_e32 v2, vcc, v4, v2
	v_addc_co_u32_e32 v3, vcc, v5, v3, vcc
	global_load_dwordx2 v[4:5], v[2:3], off
	v_cmp_lt_i64_e64 s[0:1], s[12:13], 2
	s_and_b64 vcc, exec, s[0:1]
	s_cbranch_vccnz .LBB22_9
; %bb.2:
	s_add_u32 s0, s12, -1
	s_addc_u32 s1, s13, -1
	s_mul_i32 s2, s20, s1
	s_mul_hi_u32 s3, s20, s0
	s_add_i32 s2, s3, s2
	s_mul_i32 s3, s21, s0
	s_mul_i32 s4, s25, s8
	s_mul_hi_u32 s5, s24, s8
	s_add_i32 s3, s2, s3
	s_mul_i32 s2, s20, s0
	s_add_i32 s5, s5, s4
	s_mul_i32 s4, s24, s8
	s_lshl_b64 s[2:3], s[2:3], 3
	s_lshl_b64 s[4:5], s[4:5], 3
	s_add_u32 s4, s2, s4
	v_lshl_add_u32 v10, v6, 3, 0
	s_addc_u32 s5, s3, s5
	v_mad_u64_u32 v[6:7], s[2:3], s18, v0, 0
	v_mov_b32_e32 v8, v7
	v_mad_u64_u32 v[8:9], s[2:3], s19, v0, v[8:9]
	s_lshl_b64 s[2:3], s[22:23], 3
	s_add_u32 s2, s16, s2
	s_addc_u32 s3, s17, s3
	v_mov_b32_e32 v7, v8
	s_add_u32 s2, s2, s4
	v_lshlrev_b64 v[6:7], 3, v[6:7]
	s_addc_u32 s3, s3, s5
	v_mov_b32_e32 v8, s3
	v_add_co_u32_e32 v6, vcc, s2, v6
	s_lshl_b64 s[2:3], s[20:21], 3
	s_sub_u32 s4, 0, s2
	s_subb_u32 s2, 0, s3
	v_addc_co_u32_e32 v7, vcc, v8, v7, vcc
	v_mov_b32_e32 v11, s2
.LBB22_3:                               ; =>This Inner Loop Header: Depth=1
	v_cmp_eq_u64_e32 vcc, s[0:1], v[0:1]
	s_barrier
	s_and_saveexec_b64 s[2:3], vcc
	s_cbranch_execz .LBB22_5
; %bb.4:                                ;   in Loop: Header=BB22_3 Depth=1
	s_waitcnt vmcnt(0)
	ds_write_b64 v10, v[4:5]
.LBB22_5:                               ;   in Loop: Header=BB22_3 Depth=1
	s_or_b64 exec, exec, s[2:3]
	v_cmp_gt_i64_e32 vcc, s[0:1], v[0:1]
	v_mov_b32_e32 v8, 0
	v_mov_b32_e32 v9, 0
	s_waitcnt lgkmcnt(0)
	s_barrier
	s_and_saveexec_b64 s[2:3], vcc
	s_cbranch_execz .LBB22_7
; %bb.6:                                ;   in Loop: Header=BB22_3 Depth=1
	global_load_dwordx2 v[8:9], v[6:7], off
	ds_read_b64 v[12:13], v10
	s_waitcnt vmcnt(0) lgkmcnt(0)
	v_pk_mul_f32 v[14:15], v[12:13], v[8:9] op_sel:[0,1]
	v_pk_mul_f32 v[16:17], v[12:13], v[8:9] op_sel_hi:[1,0]
	v_pk_fma_f32 v[8:9], v[12:13], v[8:9], v[14:15] op_sel:[0,0,1] op_sel_hi:[1,0,0]
	v_sub_f32_e32 v8, v16, v15
.LBB22_7:                               ;   in Loop: Header=BB22_3 Depth=1
	s_or_b64 exec, exec, s[2:3]
	s_add_u32 s2, s0, -1
	s_addc_u32 s3, s1, -1
	s_add_u32 s0, s0, 1
	s_addc_u32 s1, s1, 0
	v_add_co_u32_e32 v6, vcc, s4, v6
	v_addc_co_u32_e32 v7, vcc, v7, v11, vcc
	v_cmp_lt_u64_e64 s[0:1], s[0:1], 3
	s_waitcnt vmcnt(0)
	v_pk_add_f32 v[4:5], v[4:5], v[8:9] neg_lo:[0,1] neg_hi:[0,1]
	s_and_b64 vcc, exec, s[0:1]
	s_cbranch_vccnz .LBB22_9
; %bb.8:                                ;   in Loop: Header=BB22_3 Depth=1
	s_mov_b64 s[0:1], s[2:3]
	s_branch .LBB22_3
.LBB22_9:
	s_waitcnt vmcnt(0)
	global_store_dwordx2 v[2:3], v[4:5], off
.LBB22_10:
	s_endpgm
	.section	.rodata,"a",@progbits
	.p2align	6, 0x0
	.amdhsa_kernel _ZN9rocsolver6v33100L33unit_backward_substitution_kernelI19rocblas_complex_numIfElPS3_EEvT0_S5_T1_S5_S5_llS6_S5_S5_ll
		.amdhsa_group_segment_fixed_size 0
		.amdhsa_private_segment_fixed_size 0
		.amdhsa_kernarg_size 352
		.amdhsa_user_sgpr_count 6
		.amdhsa_user_sgpr_private_segment_buffer 1
		.amdhsa_user_sgpr_dispatch_ptr 0
		.amdhsa_user_sgpr_queue_ptr 0
		.amdhsa_user_sgpr_kernarg_segment_ptr 1
		.amdhsa_user_sgpr_dispatch_id 0
		.amdhsa_user_sgpr_flat_scratch_init 0
		.amdhsa_user_sgpr_kernarg_preload_length 0
		.amdhsa_user_sgpr_kernarg_preload_offset 0
		.amdhsa_user_sgpr_private_segment_size 0
		.amdhsa_uses_dynamic_stack 0
		.amdhsa_system_sgpr_private_segment_wavefront_offset 0
		.amdhsa_system_sgpr_workgroup_id_x 1
		.amdhsa_system_sgpr_workgroup_id_y 1
		.amdhsa_system_sgpr_workgroup_id_z 1
		.amdhsa_system_sgpr_workgroup_info 0
		.amdhsa_system_vgpr_workitem_id 1
		.amdhsa_next_free_vgpr 18
		.amdhsa_next_free_sgpr 28
		.amdhsa_accum_offset 20
		.amdhsa_reserve_vcc 1
		.amdhsa_reserve_flat_scratch 0
		.amdhsa_float_round_mode_32 0
		.amdhsa_float_round_mode_16_64 0
		.amdhsa_float_denorm_mode_32 3
		.amdhsa_float_denorm_mode_16_64 3
		.amdhsa_dx10_clamp 1
		.amdhsa_ieee_mode 1
		.amdhsa_fp16_overflow 0
		.amdhsa_tg_split 0
		.amdhsa_exception_fp_ieee_invalid_op 0
		.amdhsa_exception_fp_denorm_src 0
		.amdhsa_exception_fp_ieee_div_zero 0
		.amdhsa_exception_fp_ieee_overflow 0
		.amdhsa_exception_fp_ieee_underflow 0
		.amdhsa_exception_fp_ieee_inexact 0
		.amdhsa_exception_int_div_zero 0
	.end_amdhsa_kernel
	.section	.text._ZN9rocsolver6v33100L33unit_backward_substitution_kernelI19rocblas_complex_numIfElPS3_EEvT0_S5_T1_S5_S5_llS6_S5_S5_ll,"axG",@progbits,_ZN9rocsolver6v33100L33unit_backward_substitution_kernelI19rocblas_complex_numIfElPS3_EEvT0_S5_T1_S5_S5_llS6_S5_S5_ll,comdat
.Lfunc_end22:
	.size	_ZN9rocsolver6v33100L33unit_backward_substitution_kernelI19rocblas_complex_numIfElPS3_EEvT0_S5_T1_S5_S5_llS6_S5_S5_ll, .Lfunc_end22-_ZN9rocsolver6v33100L33unit_backward_substitution_kernelI19rocblas_complex_numIfElPS3_EEvT0_S5_T1_S5_S5_llS6_S5_S5_ll
                                        ; -- End function
	.section	.AMDGPU.csdata,"",@progbits
; Kernel info:
; codeLenInByte = 580
; NumSgprs: 32
; NumVgprs: 18
; NumAgprs: 0
; TotalNumVgprs: 18
; ScratchSize: 0
; MemoryBound: 0
; FloatMode: 240
; IeeeMode: 1
; LDSByteSize: 0 bytes/workgroup (compile time only)
; SGPRBlocks: 3
; VGPRBlocks: 2
; NumSGPRsForWavesPerEU: 32
; NumVGPRsForWavesPerEU: 18
; AccumOffset: 20
; Occupancy: 8
; WaveLimiterHint : 0
; COMPUTE_PGM_RSRC2:SCRATCH_EN: 0
; COMPUTE_PGM_RSRC2:USER_SGPR: 6
; COMPUTE_PGM_RSRC2:TRAP_HANDLER: 0
; COMPUTE_PGM_RSRC2:TGID_X_EN: 1
; COMPUTE_PGM_RSRC2:TGID_Y_EN: 1
; COMPUTE_PGM_RSRC2:TGID_Z_EN: 1
; COMPUTE_PGM_RSRC2:TIDIG_COMP_CNT: 1
; COMPUTE_PGM_RSRC3_GFX90A:ACCUM_OFFSET: 4
; COMPUTE_PGM_RSRC3_GFX90A:TG_SPLIT: 0
	.section	.text._ZN9rocsolver6v33100L36nonunit_backward_substitution_kernelI19rocblas_complex_numIfElPS3_EEvT0_S5_T1_S5_S5_llS6_S5_S5_ll,"axG",@progbits,_ZN9rocsolver6v33100L36nonunit_backward_substitution_kernelI19rocblas_complex_numIfElPS3_EEvT0_S5_T1_S5_S5_llS6_S5_S5_ll,comdat
	.globl	_ZN9rocsolver6v33100L36nonunit_backward_substitution_kernelI19rocblas_complex_numIfElPS3_EEvT0_S5_T1_S5_S5_llS6_S5_S5_ll ; -- Begin function _ZN9rocsolver6v33100L36nonunit_backward_substitution_kernelI19rocblas_complex_numIfElPS3_EEvT0_S5_T1_S5_S5_llS6_S5_S5_ll
	.p2align	8
	.type	_ZN9rocsolver6v33100L36nonunit_backward_substitution_kernelI19rocblas_complex_numIfElPS3_EEvT0_S5_T1_S5_S5_llS6_S5_S5_ll,@function
_ZN9rocsolver6v33100L36nonunit_backward_substitution_kernelI19rocblas_complex_numIfElPS3_EEvT0_S5_T1_S5_S5_llS6_S5_S5_ll: ; @_ZN9rocsolver6v33100L36nonunit_backward_substitution_kernelI19rocblas_complex_numIfElPS3_EEvT0_S5_T1_S5_S5_llS6_S5_S5_ll
; %bb.0:
	s_load_dword s0, s[4:5], 0x6c
	s_load_dwordx16 s[12:27], s[4:5], 0x0
	v_mov_b32_e32 v5, 0
	v_bfe_u32 v8, v0, 10, 10
	v_mov_b32_e32 v9, v5
	s_waitcnt lgkmcnt(0)
	s_lshr_b32 s0, s0, 16
	v_mov_b32_e32 v1, s7
	v_mad_u64_u32 v[2:3], s[0:1], s0, v1, v[8:9]
	v_cmp_gt_i64_e32 vcc, s[14:15], v[2:3]
	s_and_saveexec_b64 s[0:1], vcc
	s_cbranch_execz .LBB23_20
; %bb.1:
	s_load_dwordx8 s[36:43], s[4:5], 0x40
	s_mul_i32 s0, s8, s25
	s_mul_hi_u32 s1, s8, s24
	s_add_i32 s1, s1, s0
	s_mul_i32 s0, s8, s24
	s_lshl_b64 s[6:7], s[0:1], 3
	s_add_u32 s0, s16, s6
	s_addc_u32 s1, s17, s7
	s_lshl_b64 s[4:5], s[22:23], 3
	s_add_u32 s0, s0, s4
	s_waitcnt lgkmcnt(0)
	s_mul_i32 s2, s8, s43
	s_mul_hi_u32 s3, s8, s42
	s_addc_u32 s1, s1, s5
	s_add_i32 s3, s3, s2
	s_mul_i32 s2, s8, s42
	s_lshl_b64 s[2:3], s[2:3], 3
	s_add_u32 s8, s26, s2
	s_addc_u32 s9, s27, s3
	s_lshl_b64 s[2:3], s[40:41], 3
	v_and_b32_e32 v4, 0x3ff, v0
	s_add_u32 s8, s8, s2
	s_addc_u32 s9, s9, s3
	v_mad_u64_u32 v[0:1], s[2:3], v4, s36, 0
	v_mov_b32_e32 v6, v1
	v_mad_u64_u32 v[6:7], s[2:3], v4, s37, v[6:7]
	v_mov_b32_e32 v1, v6
	v_mul_lo_u32 v6, v3, s38
	v_mul_lo_u32 v7, v2, s39
	v_mad_u64_u32 v[2:3], s[2:3], v2, s38, 0
	v_lshlrev_b64 v[0:1], 3, v[0:1]
	v_add3_u32 v3, v3, v7, v6
	v_mov_b32_e32 v6, s9
	v_add_co_u32_e32 v7, vcc, s8, v0
	v_addc_co_u32_e32 v6, vcc, v6, v1, vcc
	v_lshlrev_b64 v[0:1], 3, v[2:3]
	v_add_co_u32_e32 v0, vcc, v7, v0
	v_addc_co_u32_e32 v1, vcc, v6, v1, vcc
	global_load_dwordx2 v[2:3], v[0:1], off
	v_cmp_lt_i64_e64 s[2:3], s[12:13], 2
	s_and_b64 vcc, exec, s[2:3]
	s_cbranch_vccnz .LBB23_13
; %bb.2:
	s_add_u32 s2, s20, s18
	v_mad_u64_u32 v[6:7], s[2:3], s2, v4, 0
	s_addc_u32 s8, s21, s19
	v_mov_b32_e32 v10, v7
	v_mad_u64_u32 v[10:11], s[2:3], s8, v4, v[10:11]
	s_add_u32 s2, s12, -1
	s_addc_u32 s3, s13, -1
	s_mul_i32 s8, s20, s3
	s_mul_hi_u32 s9, s20, s2
	s_add_i32 s8, s9, s8
	s_mul_i32 s9, s21, s2
	v_mov_b32_e32 v7, v10
	s_add_i32 s9, s8, s9
	s_mul_i32 s8, s20, s2
	v_lshlrev_b64 v[6:7], 3, v[6:7]
	s_lshl_b64 s[8:9], s[8:9], 3
	v_mov_b32_e32 v9, s1
	v_add_co_u32_e32 v6, vcc, s0, v6
	s_add_u32 s8, s8, s6
	v_addc_co_u32_e32 v7, vcc, v9, v7, vcc
	v_lshl_add_u32 v12, v8, 3, 0
	s_addc_u32 s9, s9, s7
	v_mad_u64_u32 v[8:9], s[6:7], s18, v4, 0
	v_mov_b32_e32 v10, v9
	s_add_u32 s4, s16, s4
	v_mad_u64_u32 v[10:11], s[6:7], s19, v4, v[10:11]
	s_addc_u32 s5, s17, s5
	v_mov_b32_e32 v9, v10
	s_add_u32 s4, s4, s8
	v_lshlrev_b64 v[8:9], 3, v[8:9]
	s_addc_u32 s5, s5, s9
	v_mov_b32_e32 v10, s5
	v_add_co_u32_e32 v8, vcc, s4, v8
	s_lshl_b64 s[4:5], s[20:21], 3
	s_sub_u32 s8, 0, s4
	v_addc_co_u32_e32 v9, vcc, v10, v9, vcc
	s_subb_u32 s9, 0, s5
.LBB23_3:                               ; =>This Inner Loop Header: Depth=1
	v_cmp_eq_u64_e32 vcc, s[2:3], v[4:5]
	s_barrier
	s_and_saveexec_b64 s[4:5], vcc
	s_cbranch_execz .LBB23_9
; %bb.4:                                ;   in Loop: Header=BB23_3 Depth=1
	global_load_dwordx2 v[10:11], v[6:7], off
	s_waitcnt vmcnt(0)
	v_cmp_gt_f32_e32 vcc, 0, v11
	v_cndmask_b32_e64 v13, v11, -v11, vcc
	v_cmp_gt_f32_e32 vcc, 0, v10
	v_cndmask_b32_e64 v14, v10, -v10, vcc
	v_cmp_ngt_f32_e32 vcc, v14, v13
	s_and_saveexec_b64 s[6:7], vcc
	s_xor_b64 s[6:7], exec, s[6:7]
	s_cbranch_execz .LBB23_6
; %bb.5:                                ;   in Loop: Header=BB23_3 Depth=1
	v_div_scale_f32 v13, s[10:11], v11, v11, v10
	v_rcp_f32_e32 v14, v13
	v_div_scale_f32 v15, vcc, v10, v11, v10
	v_fma_f32 v16, -v13, v14, 1.0
	v_fmac_f32_e32 v14, v16, v14
	v_mul_f32_e32 v16, v15, v14
	v_fma_f32 v17, -v13, v16, v15
	v_fmac_f32_e32 v16, v17, v14
	v_fma_f32 v13, -v13, v16, v15
	v_div_fmas_f32 v13, v13, v14, v16
	v_div_fixup_f32 v14, v13, v11, v10
	v_fmac_f32_e32 v11, v10, v14
	v_div_scale_f32 v10, s[10:11], v11, v11, 1.0
	v_rcp_f32_e32 v13, v10
	v_fma_f32 v15, -v10, v13, 1.0
	v_fmac_f32_e32 v13, v15, v13
	v_div_scale_f32 v15, vcc, 1.0, v11, 1.0
	v_mul_f32_e32 v16, v15, v13
	v_fma_f32 v17, -v10, v16, v15
	v_fmac_f32_e32 v16, v17, v13
	v_fma_f32 v10, -v10, v16, v15
	v_div_fmas_f32 v10, v10, v13, v16
	v_pk_fma_f32 v[16:17], v[2:3], v[14:15], v[2:3] op_sel:[0,0,1] op_sel_hi:[1,0,0] neg_lo:[0,0,1] neg_hi:[0,0,1]
	v_pk_fma_f32 v[2:3], v[2:3], v[14:15], v[2:3] op_sel:[0,0,1] op_sel_hi:[1,0,0]
	v_div_fixup_f32 v10, v10, v11, 1.0
	v_mov_b32_e32 v3, v17
	v_pk_mul_f32 v[2:3], v[2:3], v[10:11] op_sel_hi:[1,0]
                                        ; implicit-def: $vgpr10_vgpr11
.LBB23_6:                               ;   in Loop: Header=BB23_3 Depth=1
	s_andn2_saveexec_b64 s[6:7], s[6:7]
	s_cbranch_execz .LBB23_8
; %bb.7:                                ;   in Loop: Header=BB23_3 Depth=1
	v_div_scale_f32 v13, s[10:11], v10, v10, v11
	v_rcp_f32_e32 v14, v13
	v_div_scale_f32 v15, vcc, v11, v10, v11
	v_fma_f32 v16, -v13, v14, 1.0
	v_fmac_f32_e32 v14, v16, v14
	v_mul_f32_e32 v16, v15, v14
	v_fma_f32 v17, -v13, v16, v15
	v_fmac_f32_e32 v16, v17, v14
	v_fma_f32 v13, -v13, v16, v15
	v_div_fmas_f32 v13, v13, v14, v16
	v_div_fixup_f32 v14, v13, v10, v11
	v_fmac_f32_e32 v10, v11, v14
	v_div_scale_f32 v11, s[10:11], v10, v10, 1.0
	v_rcp_f32_e32 v13, v11
	v_fma_f32 v15, -v11, v13, 1.0
	v_fmac_f32_e32 v13, v15, v13
	v_div_scale_f32 v15, vcc, 1.0, v10, 1.0
	v_mul_f32_e32 v16, v15, v13
	v_fma_f32 v17, -v11, v16, v15
	v_fmac_f32_e32 v16, v17, v13
	v_fma_f32 v11, -v11, v16, v15
	v_pk_mul_f32 v[14:15], v[2:3], v[14:15] op_sel_hi:[1,0]
	v_div_fmas_f32 v11, v11, v13, v16
	v_pk_add_f32 v[16:17], v[2:3], v[14:15] op_sel:[0,1] op_sel_hi:[1,0] neg_lo:[0,1] neg_hi:[0,1]
	v_pk_add_f32 v[2:3], v[2:3], v[14:15] op_sel:[0,1] op_sel_hi:[1,0]
	v_div_fixup_f32 v10, v11, v10, 1.0
	v_mov_b32_e32 v3, v17
	v_pk_mul_f32 v[2:3], v[2:3], v[10:11] op_sel_hi:[1,0]
.LBB23_8:                               ;   in Loop: Header=BB23_3 Depth=1
	s_or_b64 exec, exec, s[6:7]
	ds_write_b64 v12, v[2:3]
.LBB23_9:                               ;   in Loop: Header=BB23_3 Depth=1
	s_or_b64 exec, exec, s[4:5]
	v_mov_b32_e32 v10, 0
	v_cmp_gt_i64_e32 vcc, s[2:3], v[4:5]
	v_mov_b32_e32 v11, v10
	s_waitcnt lgkmcnt(0)
	s_barrier
	s_and_saveexec_b64 s[4:5], vcc
	s_cbranch_execz .LBB23_11
; %bb.10:                               ;   in Loop: Header=BB23_3 Depth=1
	global_load_dwordx2 v[10:11], v[8:9], off
	ds_read_b64 v[14:15], v12
	s_waitcnt vmcnt(0) lgkmcnt(0)
	v_pk_mul_f32 v[16:17], v[14:15], v[10:11] op_sel:[0,1]
	v_pk_mul_f32 v[18:19], v[14:15], v[10:11] op_sel_hi:[1,0]
	v_pk_fma_f32 v[10:11], v[14:15], v[10:11], v[16:17] op_sel:[0,0,1] op_sel_hi:[1,0,0]
	v_sub_f32_e32 v10, v18, v17
.LBB23_11:                              ;   in Loop: Header=BB23_3 Depth=1
	s_or_b64 exec, exec, s[4:5]
	s_add_u32 s4, s2, -1
	s_addc_u32 s5, s3, -1
	s_add_u32 s2, s2, 1
	s_waitcnt vmcnt(0)
	v_pk_add_f32 v[2:3], v[2:3], v[10:11] neg_lo:[0,1] neg_hi:[0,1]
	s_addc_u32 s3, s3, 0
	v_mov_b32_e32 v10, s9
	v_add_co_u32_e32 v8, vcc, s8, v8
	v_addc_co_u32_e32 v9, vcc, v9, v10, vcc
	v_cmp_lt_u64_e64 s[2:3], s[2:3], 3
	s_and_b64 vcc, exec, s[2:3]
	s_cbranch_vccnz .LBB23_13
; %bb.12:                               ;   in Loop: Header=BB23_3 Depth=1
	s_mov_b64 s[2:3], s[4:5]
	s_branch .LBB23_3
.LBB23_13:
	v_cmp_eq_u32_e32 vcc, 0, v4
	s_and_saveexec_b64 s[2:3], vcc
	s_cbranch_execz .LBB23_19
; %bb.14:
	s_load_dwordx2 s[0:1], s[0:1], 0x0
	s_waitcnt lgkmcnt(0)
	v_mov_b32_e32 v4, s1
	v_cmp_lt_f32_e64 s[4:5], s1, 0
	v_mov_b32_e32 v5, s0
	v_cndmask_b32_e64 v4, v4, -v4, s[4:5]
	v_cmp_lt_f32_e64 s[4:5], s0, 0
	v_cndmask_b32_e64 v5, v5, -v5, s[4:5]
	v_cmp_ngt_f32_e32 vcc, v5, v4
	s_cbranch_vccz .LBB23_16
; %bb.15:
	v_mov_b32_e32 v4, s0
	v_div_scale_f32 v5, s[4:5], s1, s1, v4
	v_rcp_f32_e32 v6, v5
	v_mov_b32_e32 v7, s1
	v_fma_f32 v8, -v5, v6, 1.0
	v_fmac_f32_e32 v6, v8, v6
	v_div_scale_f32 v8, vcc, s0, v7, s0
	v_mul_f32_e32 v9, v8, v6
	v_fma_f32 v10, -v5, v9, v8
	v_fmac_f32_e32 v9, v10, v6
	v_fma_f32 v5, -v5, v9, v8
	v_div_fmas_f32 v5, v5, v6, v9
	v_div_fixup_f32 v5, v5, s1, v4
	v_fma_f32 v4, s0, v5, v7
	v_div_scale_f32 v6, s[4:5], v4, v4, 1.0
	v_rcp_f32_e32 v7, v6
	v_fma_f32 v8, -v6, v7, 1.0
	v_fmac_f32_e32 v7, v8, v7
	v_div_scale_f32 v8, vcc, 1.0, v4, 1.0
	v_mul_f32_e32 v9, v8, v7
	v_fma_f32 v10, -v6, v9, v8
	v_fmac_f32_e32 v9, v10, v7
	v_fma_f32 v6, -v6, v9, v8
	v_div_fmas_f32 v6, v6, v7, v9
	v_div_fixup_f32 v6, v6, v4, 1.0
	s_waitcnt vmcnt(0)
	v_fma_f32 v4, v2, v5, v3
	v_fma_f32 v5, v3, v5, -v2
	v_mul_f32_e32 v4, v4, v6
	v_mul_f32_e32 v5, v5, v6
	s_cbranch_execz .LBB23_17
	s_branch .LBB23_18
.LBB23_16:
                                        ; implicit-def: $vgpr4
                                        ; implicit-def: $vgpr5
.LBB23_17:
	v_mov_b32_e32 v4, s1
	v_div_scale_f32 v5, s[4:5], s0, s0, v4
	v_rcp_f32_e32 v6, v5
	v_mov_b32_e32 v7, s0
	v_fma_f32 v8, -v5, v6, 1.0
	v_fmac_f32_e32 v6, v8, v6
	v_div_scale_f32 v8, vcc, s1, v7, s1
	v_mul_f32_e32 v9, v8, v6
	v_fma_f32 v10, -v5, v9, v8
	v_fmac_f32_e32 v9, v10, v6
	v_fma_f32 v5, -v5, v9, v8
	v_div_fmas_f32 v5, v5, v6, v9
	v_div_fixup_f32 v5, v5, s0, v4
	v_fma_f32 v4, s1, v5, v7
	v_div_scale_f32 v6, s[0:1], v4, v4, 1.0
	v_rcp_f32_e32 v7, v6
	v_fma_f32 v8, -v6, v7, 1.0
	v_fmac_f32_e32 v7, v8, v7
	v_div_scale_f32 v8, vcc, 1.0, v4, 1.0
	v_mul_f32_e32 v9, v8, v7
	v_fma_f32 v10, -v6, v9, v8
	v_fmac_f32_e32 v9, v10, v7
	v_fma_f32 v6, -v6, v9, v8
	v_div_fmas_f32 v6, v6, v7, v9
	v_div_fixup_f32 v6, v6, v4, 1.0
	s_waitcnt vmcnt(0)
	v_fma_f32 v4, v3, v5, v2
	v_fma_f32 v2, -v2, v5, v3
	v_mul_f32_e32 v4, v4, v6
	v_mul_f32_e32 v5, v2, v6
.LBB23_18:
	s_waitcnt vmcnt(0)
	v_mov_b32_e32 v3, v5
	v_mov_b32_e32 v2, v4
.LBB23_19:
	s_or_b64 exec, exec, s[2:3]
	s_waitcnt vmcnt(0)
	global_store_dwordx2 v[0:1], v[2:3], off
.LBB23_20:
	s_endpgm
	.section	.rodata,"a",@progbits
	.p2align	6, 0x0
	.amdhsa_kernel _ZN9rocsolver6v33100L36nonunit_backward_substitution_kernelI19rocblas_complex_numIfElPS3_EEvT0_S5_T1_S5_S5_llS6_S5_S5_ll
		.amdhsa_group_segment_fixed_size 0
		.amdhsa_private_segment_fixed_size 0
		.amdhsa_kernarg_size 352
		.amdhsa_user_sgpr_count 6
		.amdhsa_user_sgpr_private_segment_buffer 1
		.amdhsa_user_sgpr_dispatch_ptr 0
		.amdhsa_user_sgpr_queue_ptr 0
		.amdhsa_user_sgpr_kernarg_segment_ptr 1
		.amdhsa_user_sgpr_dispatch_id 0
		.amdhsa_user_sgpr_flat_scratch_init 0
		.amdhsa_user_sgpr_kernarg_preload_length 0
		.amdhsa_user_sgpr_kernarg_preload_offset 0
		.amdhsa_user_sgpr_private_segment_size 0
		.amdhsa_uses_dynamic_stack 0
		.amdhsa_system_sgpr_private_segment_wavefront_offset 0
		.amdhsa_system_sgpr_workgroup_id_x 1
		.amdhsa_system_sgpr_workgroup_id_y 1
		.amdhsa_system_sgpr_workgroup_id_z 1
		.amdhsa_system_sgpr_workgroup_info 0
		.amdhsa_system_vgpr_workitem_id 1
		.amdhsa_next_free_vgpr 20
		.amdhsa_next_free_sgpr 44
		.amdhsa_accum_offset 20
		.amdhsa_reserve_vcc 1
		.amdhsa_reserve_flat_scratch 0
		.amdhsa_float_round_mode_32 0
		.amdhsa_float_round_mode_16_64 0
		.amdhsa_float_denorm_mode_32 3
		.amdhsa_float_denorm_mode_16_64 3
		.amdhsa_dx10_clamp 1
		.amdhsa_ieee_mode 1
		.amdhsa_fp16_overflow 0
		.amdhsa_tg_split 0
		.amdhsa_exception_fp_ieee_invalid_op 0
		.amdhsa_exception_fp_denorm_src 0
		.amdhsa_exception_fp_ieee_div_zero 0
		.amdhsa_exception_fp_ieee_overflow 0
		.amdhsa_exception_fp_ieee_underflow 0
		.amdhsa_exception_fp_ieee_inexact 0
		.amdhsa_exception_int_div_zero 0
	.end_amdhsa_kernel
	.section	.text._ZN9rocsolver6v33100L36nonunit_backward_substitution_kernelI19rocblas_complex_numIfElPS3_EEvT0_S5_T1_S5_S5_llS6_S5_S5_ll,"axG",@progbits,_ZN9rocsolver6v33100L36nonunit_backward_substitution_kernelI19rocblas_complex_numIfElPS3_EEvT0_S5_T1_S5_S5_llS6_S5_S5_ll,comdat
.Lfunc_end23:
	.size	_ZN9rocsolver6v33100L36nonunit_backward_substitution_kernelI19rocblas_complex_numIfElPS3_EEvT0_S5_T1_S5_S5_llS6_S5_S5_ll, .Lfunc_end23-_ZN9rocsolver6v33100L36nonunit_backward_substitution_kernelI19rocblas_complex_numIfElPS3_EEvT0_S5_T1_S5_S5_llS6_S5_S5_ll
                                        ; -- End function
	.section	.AMDGPU.csdata,"",@progbits
; Kernel info:
; codeLenInByte = 1540
; NumSgprs: 48
; NumVgprs: 20
; NumAgprs: 0
; TotalNumVgprs: 20
; ScratchSize: 0
; MemoryBound: 0
; FloatMode: 240
; IeeeMode: 1
; LDSByteSize: 0 bytes/workgroup (compile time only)
; SGPRBlocks: 5
; VGPRBlocks: 2
; NumSGPRsForWavesPerEU: 48
; NumVGPRsForWavesPerEU: 20
; AccumOffset: 20
; Occupancy: 8
; WaveLimiterHint : 0
; COMPUTE_PGM_RSRC2:SCRATCH_EN: 0
; COMPUTE_PGM_RSRC2:USER_SGPR: 6
; COMPUTE_PGM_RSRC2:TRAP_HANDLER: 0
; COMPUTE_PGM_RSRC2:TGID_X_EN: 1
; COMPUTE_PGM_RSRC2:TGID_Y_EN: 1
; COMPUTE_PGM_RSRC2:TGID_Z_EN: 1
; COMPUTE_PGM_RSRC2:TIDIG_COMP_CNT: 1
; COMPUTE_PGM_RSRC3_GFX90A:ACCUM_OFFSET: 4
; COMPUTE_PGM_RSRC3_GFX90A:TG_SPLIT: 0
	.section	.text._ZN9rocsolver6v33100L37conj_unit_forward_substitution_kernelI19rocblas_complex_numIfElPKPS3_EEvT0_S7_T1_S7_S7_llS8_S7_S7_ll,"axG",@progbits,_ZN9rocsolver6v33100L37conj_unit_forward_substitution_kernelI19rocblas_complex_numIfElPKPS3_EEvT0_S7_T1_S7_S7_llS8_S7_S7_ll,comdat
	.globl	_ZN9rocsolver6v33100L37conj_unit_forward_substitution_kernelI19rocblas_complex_numIfElPKPS3_EEvT0_S7_T1_S7_S7_llS8_S7_S7_ll ; -- Begin function _ZN9rocsolver6v33100L37conj_unit_forward_substitution_kernelI19rocblas_complex_numIfElPKPS3_EEvT0_S7_T1_S7_S7_llS8_S7_S7_ll
	.p2align	8
	.type	_ZN9rocsolver6v33100L37conj_unit_forward_substitution_kernelI19rocblas_complex_numIfElPKPS3_EEvT0_S7_T1_S7_S7_llS8_S7_S7_ll,@function
_ZN9rocsolver6v33100L37conj_unit_forward_substitution_kernelI19rocblas_complex_numIfElPKPS3_EEvT0_S7_T1_S7_S7_llS8_S7_S7_ll: ; @_ZN9rocsolver6v33100L37conj_unit_forward_substitution_kernelI19rocblas_complex_numIfElPKPS3_EEvT0_S7_T1_S7_S7_llS8_S7_S7_ll
; %bb.0:
	s_load_dword s0, s[4:5], 0x6c
	s_load_dwordx8 s[12:19], s[4:5], 0x0
	v_mov_b32_e32 v1, 0
	v_bfe_u32 v6, v0, 10, 10
	v_mov_b32_e32 v7, v1
	s_waitcnt lgkmcnt(0)
	s_lshr_b32 s0, s0, 16
	v_mov_b32_e32 v2, s7
	v_mad_u64_u32 v[2:3], s[0:1], s0, v2, v[6:7]
	v_cmp_gt_i64_e32 vcc, s[14:15], v[2:3]
	s_and_saveexec_b64 s[0:1], vcc
	s_cbranch_execz .LBB24_9
; %bb.1:
	s_load_dwordx8 s[20:27], s[4:5], 0x38
	s_mov_b32 s9, 0
	s_lshl_b64 s[6:7], s[8:9], 3
	v_and_b32_e32 v0, 0x3ff, v0
	s_waitcnt lgkmcnt(0)
	s_add_u32 s0, s20, s6
	s_addc_u32 s1, s21, s7
	s_load_dwordx2 s[0:1], s[0:1], 0x0
	v_mad_u64_u32 v[4:5], s[2:3], v0, s22, 0
	s_lshl_b64 s[2:3], s[26:27], 3
	v_mov_b32_e32 v8, v5
	s_waitcnt lgkmcnt(0)
	s_add_u32 s2, s0, s2
	s_addc_u32 s3, s1, s3
	v_mad_u64_u32 v[8:9], s[0:1], v0, s23, v[8:9]
	v_mov_b32_e32 v5, v8
	v_mul_lo_u32 v7, v3, s24
	v_mul_lo_u32 v8, v2, s25
	v_mad_u64_u32 v[2:3], s[0:1], v2, s24, 0
	v_lshlrev_b64 v[4:5], 3, v[4:5]
	v_add3_u32 v3, v3, v8, v7
	v_mov_b32_e32 v7, s3
	v_add_co_u32_e32 v4, vcc, s2, v4
	v_addc_co_u32_e32 v5, vcc, v7, v5, vcc
	v_lshlrev_b64 v[2:3], 3, v[2:3]
	v_add_co_u32_e32 v2, vcc, v4, v2
	v_addc_co_u32_e32 v3, vcc, v5, v3, vcc
	global_load_dwordx2 v[4:5], v[2:3], off
	s_load_dwordx4 s[0:3], s[4:5], 0x20
	v_cmp_lt_i64_e64 s[4:5], s[12:13], 2
	s_and_b64 vcc, exec, s[4:5]
	s_cbranch_vccnz .LBB24_8
; %bb.2:
	s_add_u32 s4, s16, s6
	s_addc_u32 s5, s17, s7
	s_load_dwordx2 s[6:7], s[4:5], 0x0
	v_lshl_add_u32 v10, v6, 3, 0
	v_mad_u64_u32 v[6:7], s[8:9], s18, v0, 0
	s_add_u32 s4, s12, -1
	v_mov_b32_e32 v8, v7
	s_addc_u32 s5, s13, -1
	v_mad_u64_u32 v[8:9], s[8:9], s19, v0, v[8:9]
	s_waitcnt lgkmcnt(0)
	s_lshl_b64 s[2:3], s[2:3], 3
	v_mov_b32_e32 v7, v8
	s_add_u32 s2, s6, s2
	v_lshlrev_b64 v[6:7], 3, v[6:7]
	s_addc_u32 s3, s7, s3
	v_mov_b32_e32 v8, s3
	v_add_co_u32_e32 v6, vcc, s2, v6
	v_addc_co_u32_e32 v7, vcc, v8, v7, vcc
	v_add_co_u32_e32 v6, vcc, 4, v6
	s_lshl_b64 s[0:1], s[0:1], 3
	v_addc_co_u32_e32 v7, vcc, 0, v7, vcc
	s_mov_b64 s[2:3], 0
	v_mov_b32_e32 v11, s1
	s_branch .LBB24_4
.LBB24_3:                               ;   in Loop: Header=BB24_4 Depth=1
	s_or_b64 exec, exec, s[6:7]
	s_add_u32 s2, s2, 1
	s_addc_u32 s3, s3, 0
	v_add_co_u32_e32 v6, vcc, s0, v6
	s_waitcnt vmcnt(0)
	v_pk_add_f32 v[4:5], v[4:5], v[8:9] neg_lo:[0,1] neg_hi:[0,1]
	s_cmp_eq_u64 s[4:5], s[2:3]
	v_addc_co_u32_e32 v7, vcc, v7, v11, vcc
	s_cbranch_scc1 .LBB24_8
.LBB24_4:                               ; =>This Inner Loop Header: Depth=1
	v_cmp_eq_u64_e32 vcc, s[2:3], v[0:1]
	s_barrier
	s_and_saveexec_b64 s[6:7], vcc
	s_cbranch_execz .LBB24_6
; %bb.5:                                ;   in Loop: Header=BB24_4 Depth=1
	s_waitcnt vmcnt(0)
	ds_write_b64 v10, v[4:5]
.LBB24_6:                               ;   in Loop: Header=BB24_4 Depth=1
	s_or_b64 exec, exec, s[6:7]
	v_cmp_lt_u64_e32 vcc, s[2:3], v[0:1]
	v_mov_b32_e32 v8, 0
	v_mov_b32_e32 v9, 0
	s_waitcnt lgkmcnt(0)
	s_barrier
	s_and_saveexec_b64 s[6:7], vcc
	s_cbranch_execz .LBB24_3
; %bb.7:                                ;   in Loop: Header=BB24_4 Depth=1
	global_load_dwordx2 v[8:9], v[6:7], off offset:-4
	ds_read_b64 v[12:13], v10
	s_waitcnt vmcnt(0) lgkmcnt(0)
	v_pk_mul_f32 v[16:17], v[8:9], v[12:13] op_sel:[1,0]
	v_pk_mul_f32 v[14:15], v[8:9], v[12:13] op_sel_hi:[0,1]
	v_pk_fma_f32 v[8:9], v[8:9], v[12:13], v[16:17] op_sel:[0,0,1] op_sel_hi:[0,1,0] neg_lo:[0,0,1] neg_hi:[0,0,1]
	v_add_f32_e32 v8, v14, v17
	s_branch .LBB24_3
.LBB24_8:
	s_waitcnt vmcnt(0)
	global_store_dwordx2 v[2:3], v[4:5], off
.LBB24_9:
	s_endpgm
	.section	.rodata,"a",@progbits
	.p2align	6, 0x0
	.amdhsa_kernel _ZN9rocsolver6v33100L37conj_unit_forward_substitution_kernelI19rocblas_complex_numIfElPKPS3_EEvT0_S7_T1_S7_S7_llS8_S7_S7_ll
		.amdhsa_group_segment_fixed_size 0
		.amdhsa_private_segment_fixed_size 0
		.amdhsa_kernarg_size 352
		.amdhsa_user_sgpr_count 6
		.amdhsa_user_sgpr_private_segment_buffer 1
		.amdhsa_user_sgpr_dispatch_ptr 0
		.amdhsa_user_sgpr_queue_ptr 0
		.amdhsa_user_sgpr_kernarg_segment_ptr 1
		.amdhsa_user_sgpr_dispatch_id 0
		.amdhsa_user_sgpr_flat_scratch_init 0
		.amdhsa_user_sgpr_kernarg_preload_length 0
		.amdhsa_user_sgpr_kernarg_preload_offset 0
		.amdhsa_user_sgpr_private_segment_size 0
		.amdhsa_uses_dynamic_stack 0
		.amdhsa_system_sgpr_private_segment_wavefront_offset 0
		.amdhsa_system_sgpr_workgroup_id_x 1
		.amdhsa_system_sgpr_workgroup_id_y 1
		.amdhsa_system_sgpr_workgroup_id_z 1
		.amdhsa_system_sgpr_workgroup_info 0
		.amdhsa_system_vgpr_workitem_id 1
		.amdhsa_next_free_vgpr 18
		.amdhsa_next_free_sgpr 28
		.amdhsa_accum_offset 20
		.amdhsa_reserve_vcc 1
		.amdhsa_reserve_flat_scratch 0
		.amdhsa_float_round_mode_32 0
		.amdhsa_float_round_mode_16_64 0
		.amdhsa_float_denorm_mode_32 3
		.amdhsa_float_denorm_mode_16_64 3
		.amdhsa_dx10_clamp 1
		.amdhsa_ieee_mode 1
		.amdhsa_fp16_overflow 0
		.amdhsa_tg_split 0
		.amdhsa_exception_fp_ieee_invalid_op 0
		.amdhsa_exception_fp_denorm_src 0
		.amdhsa_exception_fp_ieee_div_zero 0
		.amdhsa_exception_fp_ieee_overflow 0
		.amdhsa_exception_fp_ieee_underflow 0
		.amdhsa_exception_fp_ieee_inexact 0
		.amdhsa_exception_int_div_zero 0
	.end_amdhsa_kernel
	.section	.text._ZN9rocsolver6v33100L37conj_unit_forward_substitution_kernelI19rocblas_complex_numIfElPKPS3_EEvT0_S7_T1_S7_S7_llS8_S7_S7_ll,"axG",@progbits,_ZN9rocsolver6v33100L37conj_unit_forward_substitution_kernelI19rocblas_complex_numIfElPKPS3_EEvT0_S7_T1_S7_S7_llS8_S7_S7_ll,comdat
.Lfunc_end24:
	.size	_ZN9rocsolver6v33100L37conj_unit_forward_substitution_kernelI19rocblas_complex_numIfElPKPS3_EEvT0_S7_T1_S7_S7_llS8_S7_S7_ll, .Lfunc_end24-_ZN9rocsolver6v33100L37conj_unit_forward_substitution_kernelI19rocblas_complex_numIfElPKPS3_EEvT0_S7_T1_S7_S7_llS8_S7_S7_ll
                                        ; -- End function
	.section	.AMDGPU.csdata,"",@progbits
; Kernel info:
; codeLenInByte = 532
; NumSgprs: 32
; NumVgprs: 18
; NumAgprs: 0
; TotalNumVgprs: 18
; ScratchSize: 0
; MemoryBound: 0
; FloatMode: 240
; IeeeMode: 1
; LDSByteSize: 0 bytes/workgroup (compile time only)
; SGPRBlocks: 3
; VGPRBlocks: 2
; NumSGPRsForWavesPerEU: 32
; NumVGPRsForWavesPerEU: 18
; AccumOffset: 20
; Occupancy: 8
; WaveLimiterHint : 1
; COMPUTE_PGM_RSRC2:SCRATCH_EN: 0
; COMPUTE_PGM_RSRC2:USER_SGPR: 6
; COMPUTE_PGM_RSRC2:TRAP_HANDLER: 0
; COMPUTE_PGM_RSRC2:TGID_X_EN: 1
; COMPUTE_PGM_RSRC2:TGID_Y_EN: 1
; COMPUTE_PGM_RSRC2:TGID_Z_EN: 1
; COMPUTE_PGM_RSRC2:TIDIG_COMP_CNT: 1
; COMPUTE_PGM_RSRC3_GFX90A:ACCUM_OFFSET: 4
; COMPUTE_PGM_RSRC3_GFX90A:TG_SPLIT: 0
	.section	.text._ZN9rocsolver6v33100L40conj_nonunit_forward_substitution_kernelI19rocblas_complex_numIfElPKPS3_EEvT0_S7_T1_S7_S7_llS8_S7_S7_ll,"axG",@progbits,_ZN9rocsolver6v33100L40conj_nonunit_forward_substitution_kernelI19rocblas_complex_numIfElPKPS3_EEvT0_S7_T1_S7_S7_llS8_S7_S7_ll,comdat
	.globl	_ZN9rocsolver6v33100L40conj_nonunit_forward_substitution_kernelI19rocblas_complex_numIfElPKPS3_EEvT0_S7_T1_S7_S7_llS8_S7_S7_ll ; -- Begin function _ZN9rocsolver6v33100L40conj_nonunit_forward_substitution_kernelI19rocblas_complex_numIfElPKPS3_EEvT0_S7_T1_S7_S7_llS8_S7_S7_ll
	.p2align	8
	.type	_ZN9rocsolver6v33100L40conj_nonunit_forward_substitution_kernelI19rocblas_complex_numIfElPKPS3_EEvT0_S7_T1_S7_S7_llS8_S7_S7_ll,@function
_ZN9rocsolver6v33100L40conj_nonunit_forward_substitution_kernelI19rocblas_complex_numIfElPKPS3_EEvT0_S7_T1_S7_S7_llS8_S7_S7_ll: ; @_ZN9rocsolver6v33100L40conj_nonunit_forward_substitution_kernelI19rocblas_complex_numIfElPKPS3_EEvT0_S7_T1_S7_S7_llS8_S7_S7_ll
; %bb.0:
	s_load_dword s0, s[4:5], 0x6c
	s_load_dwordx8 s[12:19], s[4:5], 0x0
	v_mov_b32_e32 v5, 0
	v_bfe_u32 v8, v0, 10, 10
	v_mov_b32_e32 v9, v5
	s_waitcnt lgkmcnt(0)
	s_lshr_b32 s0, s0, 16
	v_mov_b32_e32 v1, s7
	v_mad_u64_u32 v[2:3], s[0:1], s0, v1, v[8:9]
	v_cmp_gt_i64_e32 vcc, s[14:15], v[2:3]
	s_and_saveexec_b64 s[0:1], vcc
	s_cbranch_execz .LBB25_19
; %bb.1:
	s_mov_b32 s9, 0
	s_lshl_b64 s[8:9], s[8:9], 3
	s_load_dwordx4 s[0:3], s[4:5], 0x20
	s_add_u32 s10, s16, s8
	s_addc_u32 s11, s17, s9
	s_load_dwordx2 s[6:7], s[10:11], 0x0
	s_load_dwordx8 s[20:27], s[4:5], 0x38
	v_and_b32_e32 v4, 0x3ff, v0
	s_waitcnt lgkmcnt(0)
	s_lshl_b64 s[4:5], s[2:3], 3
	s_add_u32 s14, s6, s4
	s_addc_u32 s15, s7, s5
	s_add_u32 s2, s20, s8
	s_addc_u32 s3, s21, s9
	s_load_dwordx2 s[2:3], s[2:3], 0x0
	v_mad_u64_u32 v[0:1], s[8:9], v4, s22, 0
	s_lshl_b64 s[8:9], s[26:27], 3
	v_mov_b32_e32 v6, v1
	s_waitcnt lgkmcnt(0)
	s_add_u32 s8, s2, s8
	s_addc_u32 s9, s3, s9
	v_mad_u64_u32 v[6:7], s[2:3], v4, s23, v[6:7]
	v_mov_b32_e32 v1, v6
	v_mul_lo_u32 v6, v3, s24
	v_mul_lo_u32 v7, v2, s25
	v_mad_u64_u32 v[2:3], s[2:3], v2, s24, 0
	v_lshlrev_b64 v[0:1], 3, v[0:1]
	v_add3_u32 v3, v3, v7, v6
	v_mov_b32_e32 v6, s9
	v_add_co_u32_e32 v7, vcc, s8, v0
	v_addc_co_u32_e32 v6, vcc, v6, v1, vcc
	v_lshlrev_b64 v[0:1], 3, v[2:3]
	v_add_co_u32_e32 v0, vcc, v7, v0
	v_addc_co_u32_e32 v1, vcc, v6, v1, vcc
	global_load_dwordx2 v[2:3], v[0:1], off
	s_add_u32 s2, s12, -1
	v_cmp_lt_i64_e64 s[8:9], s[12:13], 2
	s_addc_u32 s3, s13, -1
	s_and_b64 vcc, exec, s[8:9]
	s_cbranch_vccnz .LBB25_12
; %bb.2:
	s_add_u32 s8, s0, s18
	v_mad_u64_u32 v[6:7], s[8:9], s8, v4, 0
	s_addc_u32 s10, s1, s19
	v_mov_b32_e32 v10, v7
	v_mad_u64_u32 v[10:11], s[8:9], s10, v4, v[10:11]
	v_mov_b32_e32 v7, v10
	v_lshlrev_b64 v[6:7], 3, v[6:7]
	v_mov_b32_e32 v9, s15
	v_add_co_u32_e32 v6, vcc, s14, v6
	v_addc_co_u32_e32 v7, vcc, v9, v7, vcc
	v_lshl_add_u32 v12, v8, 3, 0
	v_mad_u64_u32 v[8:9], s[8:9], s18, v4, 0
	v_mov_b32_e32 v10, v9
	v_mad_u64_u32 v[10:11], s[8:9], s19, v4, v[10:11]
	v_mov_b32_e32 v9, v10
	s_add_u32 s4, s6, s4
	v_lshlrev_b64 v[8:9], 3, v[8:9]
	s_addc_u32 s5, s7, s5
	v_mov_b32_e32 v10, s5
	v_add_co_u32_e32 v8, vcc, s4, v8
	v_addc_co_u32_e32 v9, vcc, v10, v9, vcc
	v_add_co_u32_e32 v8, vcc, 4, v8
	v_addc_co_u32_e32 v9, vcc, 0, v9, vcc
	s_lshl_b64 s[4:5], s[0:1], 3
	s_mov_b64 s[6:7], 0
	s_branch .LBB25_4
.LBB25_3:                               ;   in Loop: Header=BB25_4 Depth=1
	s_or_b64 exec, exec, s[8:9]
	s_add_u32 s6, s6, 1
	s_waitcnt vmcnt(0)
	v_pk_add_f32 v[2:3], v[2:3], v[10:11] neg_lo:[0,1] neg_hi:[0,1]
	s_addc_u32 s7, s7, 0
	v_mov_b32_e32 v10, s5
	v_add_co_u32_e32 v8, vcc, s4, v8
	s_cmp_eq_u64 s[2:3], s[6:7]
	v_addc_co_u32_e32 v9, vcc, v9, v10, vcc
	s_cbranch_scc1 .LBB25_12
.LBB25_4:                               ; =>This Inner Loop Header: Depth=1
	v_cmp_eq_u64_e32 vcc, s[6:7], v[4:5]
	s_barrier
	s_and_saveexec_b64 s[8:9], vcc
	s_cbranch_execz .LBB25_10
; %bb.5:                                ;   in Loop: Header=BB25_4 Depth=1
	global_load_dwordx2 v[10:11], v[6:7], off
	s_waitcnt vmcnt(0)
	v_cmp_gt_f32_e32 vcc, 0, v10
	v_cndmask_b32_e64 v13, v10, -v10, vcc
	v_cmp_lt_f32_e32 vcc, 0, v11
	v_cndmask_b32_e64 v14, -v11, v11, vcc
	v_cmp_ngt_f32_e32 vcc, v13, v14
	s_and_saveexec_b64 s[10:11], vcc
	s_xor_b64 s[10:11], exec, s[10:11]
	s_cbranch_execz .LBB25_7
; %bb.6:                                ;   in Loop: Header=BB25_4 Depth=1
	v_div_scale_f32 v13, s[12:13], -v11, -v11, v10
	v_rcp_f32_e32 v14, v13
	v_div_scale_f32 v15, vcc, v10, -v11, v10
	v_fma_f32 v16, -v13, v14, 1.0
	v_fmac_f32_e32 v14, v16, v14
	v_mul_f32_e32 v16, v15, v14
	v_fma_f32 v17, -v13, v16, v15
	v_fmac_f32_e32 v16, v17, v14
	v_fma_f32 v13, -v13, v16, v15
	v_div_fmas_f32 v13, v13, v14, v16
	v_div_fixup_f32 v13, v13, -v11, v10
	v_fma_f32 v10, v10, v13, -v11
	v_div_scale_f32 v11, s[12:13], v10, v10, 1.0
	v_rcp_f32_e32 v14, v11
	v_fma_f32 v15, -v11, v14, 1.0
	v_fmac_f32_e32 v14, v15, v14
	v_div_scale_f32 v15, vcc, 1.0, v10, 1.0
	v_mul_f32_e32 v16, v15, v14
	v_fma_f32 v17, -v11, v16, v15
	v_fmac_f32_e32 v16, v17, v14
	v_fma_f32 v11, -v11, v16, v15
	v_div_fmas_f32 v11, v11, v14, v16
	v_div_fixup_f32 v11, v11, v10, 1.0
	v_fma_f32 v10, v2, v13, v3
	v_fma_f32 v3, v3, v13, -v2
	v_mov_b32_e32 v2, v11
	v_pk_mul_f32 v[2:3], v[10:11], v[2:3]
                                        ; implicit-def: $vgpr10_vgpr11
.LBB25_7:                               ;   in Loop: Header=BB25_4 Depth=1
	s_andn2_saveexec_b64 s[10:11], s[10:11]
	s_cbranch_execz .LBB25_9
; %bb.8:                                ;   in Loop: Header=BB25_4 Depth=1
	v_div_scale_f32 v13, s[12:13], v10, v10, -v11
	v_rcp_f32_e32 v14, v13
	v_div_scale_f32 v15, vcc, -v11, v10, -v11
	v_fma_f32 v16, -v13, v14, 1.0
	v_fmac_f32_e32 v14, v16, v14
	v_mul_f32_e32 v16, v15, v14
	v_fma_f32 v17, -v13, v16, v15
	v_fmac_f32_e32 v16, v17, v14
	v_fma_f32 v13, -v13, v16, v15
	v_div_fmas_f32 v13, v13, v14, v16
	v_div_fixup_f32 v14, v13, v10, -v11
	v_fma_f32 v10, -v11, v14, v10
	v_div_scale_f32 v11, s[12:13], v10, v10, 1.0
	v_rcp_f32_e32 v13, v11
	v_fma_f32 v15, -v11, v13, 1.0
	v_fmac_f32_e32 v13, v15, v13
	v_div_scale_f32 v15, vcc, 1.0, v10, 1.0
	v_mul_f32_e32 v16, v15, v13
	v_fma_f32 v17, -v11, v16, v15
	v_fmac_f32_e32 v16, v17, v13
	v_fma_f32 v11, -v11, v16, v15
	v_pk_mul_f32 v[14:15], v[2:3], v[14:15] op_sel_hi:[1,0]
	v_div_fmas_f32 v11, v11, v13, v16
	v_pk_add_f32 v[16:17], v[2:3], v[14:15] op_sel:[0,1] op_sel_hi:[1,0]
	v_pk_add_f32 v[2:3], v[2:3], v[14:15] op_sel:[0,1] op_sel_hi:[1,0] neg_lo:[0,1] neg_hi:[0,1]
	v_div_fixup_f32 v10, v11, v10, 1.0
	v_mov_b32_e32 v17, v3
	v_pk_mul_f32 v[2:3], v[16:17], v[10:11] op_sel_hi:[1,0]
.LBB25_9:                               ;   in Loop: Header=BB25_4 Depth=1
	s_or_b64 exec, exec, s[10:11]
	ds_write_b64 v12, v[2:3]
.LBB25_10:                              ;   in Loop: Header=BB25_4 Depth=1
	s_or_b64 exec, exec, s[8:9]
	v_mov_b32_e32 v10, 0
	v_cmp_lt_u64_e32 vcc, s[6:7], v[4:5]
	v_mov_b32_e32 v11, v10
	s_waitcnt lgkmcnt(0)
	s_barrier
	s_and_saveexec_b64 s[8:9], vcc
	s_cbranch_execz .LBB25_3
; %bb.11:                               ;   in Loop: Header=BB25_4 Depth=1
	global_load_dwordx2 v[10:11], v[8:9], off offset:-4
	ds_read_b64 v[14:15], v12
	s_waitcnt vmcnt(0) lgkmcnt(0)
	v_pk_mul_f32 v[18:19], v[10:11], v[14:15] op_sel:[1,0]
	v_pk_mul_f32 v[16:17], v[10:11], v[14:15] op_sel_hi:[0,1]
	v_pk_fma_f32 v[10:11], v[10:11], v[14:15], v[18:19] op_sel:[0,0,1] op_sel_hi:[0,1,0] neg_lo:[0,0,1] neg_hi:[0,0,1]
	v_add_f32_e32 v10, v16, v19
	s_branch .LBB25_3
.LBB25_12:
	v_cmp_eq_u64_e32 vcc, s[2:3], v[4:5]
	s_and_saveexec_b64 s[2:3], vcc
	s_cbranch_execz .LBB25_18
; %bb.13:
	s_add_u32 s0, s0, s18
	s_addc_u32 s4, s1, s19
	v_mad_u64_u32 v[6:7], s[0:1], s0, v4, 0
	v_mov_b32_e32 v8, v7
	v_mad_u64_u32 v[4:5], s[0:1], s4, v4, v[8:9]
	v_mov_b32_e32 v7, v4
	v_lshlrev_b64 v[4:5], 3, v[6:7]
	v_mov_b32_e32 v6, s15
	v_add_co_u32_e32 v4, vcc, s14, v4
	v_addc_co_u32_e32 v5, vcc, v6, v5, vcc
	global_load_dwordx2 v[4:5], v[4:5], off
	s_waitcnt vmcnt(0)
	v_cmp_gt_f32_e32 vcc, 0, v4
	v_cndmask_b32_e64 v6, v4, -v4, vcc
	v_cmp_lt_f32_e32 vcc, 0, v5
	v_cndmask_b32_e64 v7, -v5, v5, vcc
	v_cmp_ngt_f32_e32 vcc, v6, v7
	s_and_saveexec_b64 s[0:1], vcc
	s_xor_b64 s[0:1], exec, s[0:1]
	s_cbranch_execz .LBB25_15
; %bb.14:
	v_div_scale_f32 v6, s[4:5], -v5, -v5, v4
	v_rcp_f32_e32 v7, v6
	v_div_scale_f32 v8, vcc, v4, -v5, v4
	v_fma_f32 v9, -v6, v7, 1.0
	v_fmac_f32_e32 v7, v9, v7
	v_mul_f32_e32 v9, v8, v7
	v_fma_f32 v10, -v6, v9, v8
	v_fmac_f32_e32 v9, v10, v7
	v_fma_f32 v6, -v6, v9, v8
	v_div_fmas_f32 v6, v6, v7, v9
	v_div_fixup_f32 v6, v6, -v5, v4
	v_fma_f32 v4, v4, v6, -v5
	v_div_scale_f32 v5, s[4:5], v4, v4, 1.0
	v_rcp_f32_e32 v7, v5
	v_fma_f32 v8, -v5, v7, 1.0
	v_fmac_f32_e32 v7, v8, v7
	v_div_scale_f32 v8, vcc, 1.0, v4, 1.0
	v_mul_f32_e32 v9, v8, v7
	v_fma_f32 v10, -v5, v9, v8
	v_fmac_f32_e32 v9, v10, v7
	v_fma_f32 v5, -v5, v9, v8
	v_div_fmas_f32 v5, v5, v7, v9
	v_div_fixup_f32 v5, v5, v4, 1.0
	v_fma_f32 v4, v2, v6, v3
	v_fma_f32 v3, v3, v6, -v2
	v_mov_b32_e32 v2, v5
	v_pk_mul_f32 v[2:3], v[4:5], v[2:3]
                                        ; implicit-def: $vgpr4_vgpr5
.LBB25_15:
	s_andn2_saveexec_b64 s[0:1], s[0:1]
	s_cbranch_execz .LBB25_17
; %bb.16:
	v_div_scale_f32 v6, s[4:5], v4, v4, -v5
	v_rcp_f32_e32 v7, v6
	v_div_scale_f32 v8, vcc, -v5, v4, -v5
	v_fma_f32 v9, -v6, v7, 1.0
	v_fmac_f32_e32 v7, v9, v7
	v_mul_f32_e32 v9, v8, v7
	v_fma_f32 v10, -v6, v9, v8
	v_fmac_f32_e32 v9, v10, v7
	v_fma_f32 v6, -v6, v9, v8
	v_div_fmas_f32 v6, v6, v7, v9
	v_div_fixup_f32 v6, v6, v4, -v5
	v_fma_f32 v4, -v5, v6, v4
	v_div_scale_f32 v5, s[4:5], v4, v4, 1.0
	v_rcp_f32_e32 v7, v5
	v_fma_f32 v8, -v5, v7, 1.0
	v_fmac_f32_e32 v7, v8, v7
	v_div_scale_f32 v8, vcc, 1.0, v4, 1.0
	v_mul_f32_e32 v9, v8, v7
	v_fma_f32 v10, -v5, v9, v8
	v_fmac_f32_e32 v9, v10, v7
	v_fma_f32 v5, -v5, v9, v8
	v_div_fmas_f32 v5, v5, v7, v9
	v_pk_mul_f32 v[6:7], v[2:3], v[6:7] op_sel_hi:[1,0]
	v_pk_add_f32 v[8:9], v[2:3], v[6:7] op_sel:[0,1] op_sel_hi:[1,0]
	v_pk_add_f32 v[2:3], v[2:3], v[6:7] op_sel:[0,1] op_sel_hi:[1,0] neg_lo:[0,1] neg_hi:[0,1]
	v_div_fixup_f32 v4, v5, v4, 1.0
	v_mov_b32_e32 v9, v3
	v_pk_mul_f32 v[2:3], v[8:9], v[4:5] op_sel_hi:[1,0]
.LBB25_17:
	s_or_b64 exec, exec, s[0:1]
.LBB25_18:
	s_or_b64 exec, exec, s[2:3]
	s_waitcnt vmcnt(0)
	global_store_dwordx2 v[0:1], v[2:3], off
.LBB25_19:
	s_endpgm
	.section	.rodata,"a",@progbits
	.p2align	6, 0x0
	.amdhsa_kernel _ZN9rocsolver6v33100L40conj_nonunit_forward_substitution_kernelI19rocblas_complex_numIfElPKPS3_EEvT0_S7_T1_S7_S7_llS8_S7_S7_ll
		.amdhsa_group_segment_fixed_size 0
		.amdhsa_private_segment_fixed_size 0
		.amdhsa_kernarg_size 352
		.amdhsa_user_sgpr_count 6
		.amdhsa_user_sgpr_private_segment_buffer 1
		.amdhsa_user_sgpr_dispatch_ptr 0
		.amdhsa_user_sgpr_queue_ptr 0
		.amdhsa_user_sgpr_kernarg_segment_ptr 1
		.amdhsa_user_sgpr_dispatch_id 0
		.amdhsa_user_sgpr_flat_scratch_init 0
		.amdhsa_user_sgpr_kernarg_preload_length 0
		.amdhsa_user_sgpr_kernarg_preload_offset 0
		.amdhsa_user_sgpr_private_segment_size 0
		.amdhsa_uses_dynamic_stack 0
		.amdhsa_system_sgpr_private_segment_wavefront_offset 0
		.amdhsa_system_sgpr_workgroup_id_x 1
		.amdhsa_system_sgpr_workgroup_id_y 1
		.amdhsa_system_sgpr_workgroup_id_z 1
		.amdhsa_system_sgpr_workgroup_info 0
		.amdhsa_system_vgpr_workitem_id 1
		.amdhsa_next_free_vgpr 20
		.amdhsa_next_free_sgpr 28
		.amdhsa_accum_offset 20
		.amdhsa_reserve_vcc 1
		.amdhsa_reserve_flat_scratch 0
		.amdhsa_float_round_mode_32 0
		.amdhsa_float_round_mode_16_64 0
		.amdhsa_float_denorm_mode_32 3
		.amdhsa_float_denorm_mode_16_64 3
		.amdhsa_dx10_clamp 1
		.amdhsa_ieee_mode 1
		.amdhsa_fp16_overflow 0
		.amdhsa_tg_split 0
		.amdhsa_exception_fp_ieee_invalid_op 0
		.amdhsa_exception_fp_denorm_src 0
		.amdhsa_exception_fp_ieee_div_zero 0
		.amdhsa_exception_fp_ieee_overflow 0
		.amdhsa_exception_fp_ieee_underflow 0
		.amdhsa_exception_fp_ieee_inexact 0
		.amdhsa_exception_int_div_zero 0
	.end_amdhsa_kernel
	.section	.text._ZN9rocsolver6v33100L40conj_nonunit_forward_substitution_kernelI19rocblas_complex_numIfElPKPS3_EEvT0_S7_T1_S7_S7_llS8_S7_S7_ll,"axG",@progbits,_ZN9rocsolver6v33100L40conj_nonunit_forward_substitution_kernelI19rocblas_complex_numIfElPKPS3_EEvT0_S7_T1_S7_S7_llS8_S7_S7_ll,comdat
.Lfunc_end25:
	.size	_ZN9rocsolver6v33100L40conj_nonunit_forward_substitution_kernelI19rocblas_complex_numIfElPKPS3_EEvT0_S7_T1_S7_S7_llS8_S7_S7_ll, .Lfunc_end25-_ZN9rocsolver6v33100L40conj_nonunit_forward_substitution_kernelI19rocblas_complex_numIfElPKPS3_EEvT0_S7_T1_S7_S7_llS8_S7_S7_ll
                                        ; -- End function
	.section	.AMDGPU.csdata,"",@progbits
; Kernel info:
; codeLenInByte = 1516
; NumSgprs: 32
; NumVgprs: 20
; NumAgprs: 0
; TotalNumVgprs: 20
; ScratchSize: 0
; MemoryBound: 0
; FloatMode: 240
; IeeeMode: 1
; LDSByteSize: 0 bytes/workgroup (compile time only)
; SGPRBlocks: 3
; VGPRBlocks: 2
; NumSGPRsForWavesPerEU: 32
; NumVGPRsForWavesPerEU: 20
; AccumOffset: 20
; Occupancy: 8
; WaveLimiterHint : 1
; COMPUTE_PGM_RSRC2:SCRATCH_EN: 0
; COMPUTE_PGM_RSRC2:USER_SGPR: 6
; COMPUTE_PGM_RSRC2:TRAP_HANDLER: 0
; COMPUTE_PGM_RSRC2:TGID_X_EN: 1
; COMPUTE_PGM_RSRC2:TGID_Y_EN: 1
; COMPUTE_PGM_RSRC2:TGID_Z_EN: 1
; COMPUTE_PGM_RSRC2:TIDIG_COMP_CNT: 1
; COMPUTE_PGM_RSRC3_GFX90A:ACCUM_OFFSET: 4
; COMPUTE_PGM_RSRC3_GFX90A:TG_SPLIT: 0
	.section	.text._ZN9rocsolver6v33100L32unit_forward_substitution_kernelI19rocblas_complex_numIfElPKPS3_EEvT0_S7_T1_S7_S7_llS8_S7_S7_ll,"axG",@progbits,_ZN9rocsolver6v33100L32unit_forward_substitution_kernelI19rocblas_complex_numIfElPKPS3_EEvT0_S7_T1_S7_S7_llS8_S7_S7_ll,comdat
	.globl	_ZN9rocsolver6v33100L32unit_forward_substitution_kernelI19rocblas_complex_numIfElPKPS3_EEvT0_S7_T1_S7_S7_llS8_S7_S7_ll ; -- Begin function _ZN9rocsolver6v33100L32unit_forward_substitution_kernelI19rocblas_complex_numIfElPKPS3_EEvT0_S7_T1_S7_S7_llS8_S7_S7_ll
	.p2align	8
	.type	_ZN9rocsolver6v33100L32unit_forward_substitution_kernelI19rocblas_complex_numIfElPKPS3_EEvT0_S7_T1_S7_S7_llS8_S7_S7_ll,@function
_ZN9rocsolver6v33100L32unit_forward_substitution_kernelI19rocblas_complex_numIfElPKPS3_EEvT0_S7_T1_S7_S7_llS8_S7_S7_ll: ; @_ZN9rocsolver6v33100L32unit_forward_substitution_kernelI19rocblas_complex_numIfElPKPS3_EEvT0_S7_T1_S7_S7_llS8_S7_S7_ll
; %bb.0:
	s_load_dword s0, s[4:5], 0x6c
	s_load_dwordx8 s[12:19], s[4:5], 0x0
	v_mov_b32_e32 v1, 0
	v_bfe_u32 v6, v0, 10, 10
	v_mov_b32_e32 v7, v1
	s_waitcnt lgkmcnt(0)
	s_lshr_b32 s0, s0, 16
	v_mov_b32_e32 v2, s7
	v_mad_u64_u32 v[2:3], s[0:1], s0, v2, v[6:7]
	v_cmp_gt_i64_e32 vcc, s[14:15], v[2:3]
	s_and_saveexec_b64 s[0:1], vcc
	s_cbranch_execz .LBB26_9
; %bb.1:
	s_load_dwordx8 s[20:27], s[4:5], 0x38
	s_mov_b32 s9, 0
	s_lshl_b64 s[6:7], s[8:9], 3
	v_and_b32_e32 v0, 0x3ff, v0
	s_waitcnt lgkmcnt(0)
	s_add_u32 s0, s20, s6
	s_addc_u32 s1, s21, s7
	s_load_dwordx2 s[0:1], s[0:1], 0x0
	v_mad_u64_u32 v[4:5], s[2:3], v0, s22, 0
	s_lshl_b64 s[2:3], s[26:27], 3
	v_mov_b32_e32 v8, v5
	s_waitcnt lgkmcnt(0)
	s_add_u32 s2, s0, s2
	s_addc_u32 s3, s1, s3
	v_mad_u64_u32 v[8:9], s[0:1], v0, s23, v[8:9]
	v_mov_b32_e32 v5, v8
	v_mul_lo_u32 v7, v3, s24
	v_mul_lo_u32 v8, v2, s25
	v_mad_u64_u32 v[2:3], s[0:1], v2, s24, 0
	v_lshlrev_b64 v[4:5], 3, v[4:5]
	v_add3_u32 v3, v3, v8, v7
	v_mov_b32_e32 v7, s3
	v_add_co_u32_e32 v4, vcc, s2, v4
	v_addc_co_u32_e32 v5, vcc, v7, v5, vcc
	v_lshlrev_b64 v[2:3], 3, v[2:3]
	v_add_co_u32_e32 v2, vcc, v4, v2
	v_addc_co_u32_e32 v3, vcc, v5, v3, vcc
	global_load_dwordx2 v[4:5], v[2:3], off
	s_load_dwordx4 s[0:3], s[4:5], 0x20
	v_cmp_lt_i64_e64 s[4:5], s[12:13], 2
	s_and_b64 vcc, exec, s[4:5]
	s_cbranch_vccnz .LBB26_8
; %bb.2:
	s_add_u32 s4, s16, s6
	s_addc_u32 s5, s17, s7
	s_load_dwordx2 s[4:5], s[4:5], 0x0
	v_mad_u64_u32 v[8:9], s[6:7], v0, s18, 0
	s_waitcnt lgkmcnt(0)
	s_lshl_b64 s[2:3], s[2:3], 3
	v_mov_b32_e32 v10, v9
	s_add_u32 s4, s4, s2
	s_addc_u32 s5, s5, s3
	v_mad_u64_u32 v[10:11], s[2:3], v0, s19, v[10:11]
	v_mov_b32_e32 v9, v10
	v_lshl_add_u32 v10, v6, 3, 0
	v_lshlrev_b64 v[6:7], 3, v[8:9]
	s_add_u32 s2, s12, -1
	v_mov_b32_e32 v8, s5
	v_add_co_u32_e32 v6, vcc, s4, v6
	s_addc_u32 s3, s13, -1
	s_lshl_b64 s[0:1], s[0:1], 3
	v_addc_co_u32_e32 v7, vcc, v8, v7, vcc
	s_mov_b64 s[4:5], 0
	v_mov_b32_e32 v11, s1
	s_branch .LBB26_4
.LBB26_3:                               ;   in Loop: Header=BB26_4 Depth=1
	s_or_b64 exec, exec, s[6:7]
	s_add_u32 s4, s4, 1
	s_addc_u32 s5, s5, 0
	v_add_co_u32_e32 v6, vcc, s0, v6
	s_waitcnt vmcnt(0)
	v_pk_add_f32 v[4:5], v[4:5], v[8:9] neg_lo:[0,1] neg_hi:[0,1]
	s_cmp_eq_u64 s[2:3], s[4:5]
	v_addc_co_u32_e32 v7, vcc, v7, v11, vcc
	s_cbranch_scc1 .LBB26_8
.LBB26_4:                               ; =>This Inner Loop Header: Depth=1
	v_cmp_eq_u64_e32 vcc, s[4:5], v[0:1]
	s_barrier
	s_and_saveexec_b64 s[6:7], vcc
	s_cbranch_execz .LBB26_6
; %bb.5:                                ;   in Loop: Header=BB26_4 Depth=1
	s_waitcnt vmcnt(0)
	ds_write_b64 v10, v[4:5]
.LBB26_6:                               ;   in Loop: Header=BB26_4 Depth=1
	s_or_b64 exec, exec, s[6:7]
	v_cmp_lt_u64_e32 vcc, s[4:5], v[0:1]
	v_mov_b32_e32 v8, 0
	v_mov_b32_e32 v9, 0
	s_waitcnt lgkmcnt(0)
	s_barrier
	s_and_saveexec_b64 s[6:7], vcc
	s_cbranch_execz .LBB26_3
; %bb.7:                                ;   in Loop: Header=BB26_4 Depth=1
	global_load_dwordx2 v[8:9], v[6:7], off
	ds_read_b64 v[12:13], v10
	s_waitcnt vmcnt(0) lgkmcnt(0)
	v_pk_mul_f32 v[14:15], v[12:13], v[8:9] op_sel:[0,1]
	v_pk_mul_f32 v[16:17], v[12:13], v[8:9] op_sel_hi:[1,0]
	v_pk_fma_f32 v[8:9], v[12:13], v[8:9], v[14:15] op_sel:[0,0,1] op_sel_hi:[1,0,0]
	v_sub_f32_e32 v8, v16, v15
	s_branch .LBB26_3
.LBB26_8:
	s_waitcnt vmcnt(0)
	global_store_dwordx2 v[2:3], v[4:5], off
.LBB26_9:
	s_endpgm
	.section	.rodata,"a",@progbits
	.p2align	6, 0x0
	.amdhsa_kernel _ZN9rocsolver6v33100L32unit_forward_substitution_kernelI19rocblas_complex_numIfElPKPS3_EEvT0_S7_T1_S7_S7_llS8_S7_S7_ll
		.amdhsa_group_segment_fixed_size 0
		.amdhsa_private_segment_fixed_size 0
		.amdhsa_kernarg_size 352
		.amdhsa_user_sgpr_count 6
		.amdhsa_user_sgpr_private_segment_buffer 1
		.amdhsa_user_sgpr_dispatch_ptr 0
		.amdhsa_user_sgpr_queue_ptr 0
		.amdhsa_user_sgpr_kernarg_segment_ptr 1
		.amdhsa_user_sgpr_dispatch_id 0
		.amdhsa_user_sgpr_flat_scratch_init 0
		.amdhsa_user_sgpr_kernarg_preload_length 0
		.amdhsa_user_sgpr_kernarg_preload_offset 0
		.amdhsa_user_sgpr_private_segment_size 0
		.amdhsa_uses_dynamic_stack 0
		.amdhsa_system_sgpr_private_segment_wavefront_offset 0
		.amdhsa_system_sgpr_workgroup_id_x 1
		.amdhsa_system_sgpr_workgroup_id_y 1
		.amdhsa_system_sgpr_workgroup_id_z 1
		.amdhsa_system_sgpr_workgroup_info 0
		.amdhsa_system_vgpr_workitem_id 1
		.amdhsa_next_free_vgpr 18
		.amdhsa_next_free_sgpr 28
		.amdhsa_accum_offset 20
		.amdhsa_reserve_vcc 1
		.amdhsa_reserve_flat_scratch 0
		.amdhsa_float_round_mode_32 0
		.amdhsa_float_round_mode_16_64 0
		.amdhsa_float_denorm_mode_32 3
		.amdhsa_float_denorm_mode_16_64 3
		.amdhsa_dx10_clamp 1
		.amdhsa_ieee_mode 1
		.amdhsa_fp16_overflow 0
		.amdhsa_tg_split 0
		.amdhsa_exception_fp_ieee_invalid_op 0
		.amdhsa_exception_fp_denorm_src 0
		.amdhsa_exception_fp_ieee_div_zero 0
		.amdhsa_exception_fp_ieee_overflow 0
		.amdhsa_exception_fp_ieee_underflow 0
		.amdhsa_exception_fp_ieee_inexact 0
		.amdhsa_exception_int_div_zero 0
	.end_amdhsa_kernel
	.section	.text._ZN9rocsolver6v33100L32unit_forward_substitution_kernelI19rocblas_complex_numIfElPKPS3_EEvT0_S7_T1_S7_S7_llS8_S7_S7_ll,"axG",@progbits,_ZN9rocsolver6v33100L32unit_forward_substitution_kernelI19rocblas_complex_numIfElPKPS3_EEvT0_S7_T1_S7_S7_llS8_S7_S7_ll,comdat
.Lfunc_end26:
	.size	_ZN9rocsolver6v33100L32unit_forward_substitution_kernelI19rocblas_complex_numIfElPKPS3_EEvT0_S7_T1_S7_S7_llS8_S7_S7_ll, .Lfunc_end26-_ZN9rocsolver6v33100L32unit_forward_substitution_kernelI19rocblas_complex_numIfElPKPS3_EEvT0_S7_T1_S7_S7_llS8_S7_S7_ll
                                        ; -- End function
	.section	.AMDGPU.csdata,"",@progbits
; Kernel info:
; codeLenInByte = 524
; NumSgprs: 32
; NumVgprs: 18
; NumAgprs: 0
; TotalNumVgprs: 18
; ScratchSize: 0
; MemoryBound: 0
; FloatMode: 240
; IeeeMode: 1
; LDSByteSize: 0 bytes/workgroup (compile time only)
; SGPRBlocks: 3
; VGPRBlocks: 2
; NumSGPRsForWavesPerEU: 32
; NumVGPRsForWavesPerEU: 18
; AccumOffset: 20
; Occupancy: 8
; WaveLimiterHint : 1
; COMPUTE_PGM_RSRC2:SCRATCH_EN: 0
; COMPUTE_PGM_RSRC2:USER_SGPR: 6
; COMPUTE_PGM_RSRC2:TRAP_HANDLER: 0
; COMPUTE_PGM_RSRC2:TGID_X_EN: 1
; COMPUTE_PGM_RSRC2:TGID_Y_EN: 1
; COMPUTE_PGM_RSRC2:TGID_Z_EN: 1
; COMPUTE_PGM_RSRC2:TIDIG_COMP_CNT: 1
; COMPUTE_PGM_RSRC3_GFX90A:ACCUM_OFFSET: 4
; COMPUTE_PGM_RSRC3_GFX90A:TG_SPLIT: 0
	.section	.text._ZN9rocsolver6v33100L35nonunit_forward_substitution_kernelI19rocblas_complex_numIfElPKPS3_EEvT0_S7_T1_S7_S7_llS8_S7_S7_ll,"axG",@progbits,_ZN9rocsolver6v33100L35nonunit_forward_substitution_kernelI19rocblas_complex_numIfElPKPS3_EEvT0_S7_T1_S7_S7_llS8_S7_S7_ll,comdat
	.globl	_ZN9rocsolver6v33100L35nonunit_forward_substitution_kernelI19rocblas_complex_numIfElPKPS3_EEvT0_S7_T1_S7_S7_llS8_S7_S7_ll ; -- Begin function _ZN9rocsolver6v33100L35nonunit_forward_substitution_kernelI19rocblas_complex_numIfElPKPS3_EEvT0_S7_T1_S7_S7_llS8_S7_S7_ll
	.p2align	8
	.type	_ZN9rocsolver6v33100L35nonunit_forward_substitution_kernelI19rocblas_complex_numIfElPKPS3_EEvT0_S7_T1_S7_S7_llS8_S7_S7_ll,@function
_ZN9rocsolver6v33100L35nonunit_forward_substitution_kernelI19rocblas_complex_numIfElPKPS3_EEvT0_S7_T1_S7_S7_llS8_S7_S7_ll: ; @_ZN9rocsolver6v33100L35nonunit_forward_substitution_kernelI19rocblas_complex_numIfElPKPS3_EEvT0_S7_T1_S7_S7_llS8_S7_S7_ll
; %bb.0:
	s_load_dword s0, s[4:5], 0x6c
	s_load_dwordx8 s[12:19], s[4:5], 0x0
	v_mov_b32_e32 v5, 0
	v_bfe_u32 v8, v0, 10, 10
	v_mov_b32_e32 v9, v5
	s_waitcnt lgkmcnt(0)
	s_lshr_b32 s0, s0, 16
	v_mov_b32_e32 v1, s7
	v_mad_u64_u32 v[2:3], s[0:1], s0, v1, v[8:9]
	v_cmp_gt_i64_e32 vcc, s[14:15], v[2:3]
	s_and_saveexec_b64 s[0:1], vcc
	s_cbranch_execz .LBB27_19
; %bb.1:
	s_mov_b32 s9, 0
	s_lshl_b64 s[6:7], s[8:9], 3
	s_load_dwordx4 s[0:3], s[4:5], 0x20
	s_add_u32 s8, s16, s6
	s_addc_u32 s9, s17, s7
	s_load_dwordx2 s[10:11], s[8:9], 0x0
	s_load_dwordx8 s[20:27], s[4:5], 0x38
	v_and_b32_e32 v4, 0x3ff, v0
	s_waitcnt lgkmcnt(0)
	s_lshl_b64 s[2:3], s[2:3], 3
	s_add_u32 s14, s10, s2
	s_addc_u32 s15, s11, s3
	s_add_u32 s2, s20, s6
	s_addc_u32 s3, s21, s7
	s_load_dwordx2 s[2:3], s[2:3], 0x0
	v_mad_u64_u32 v[0:1], s[4:5], v4, s22, 0
	s_lshl_b64 s[4:5], s[26:27], 3
	v_mov_b32_e32 v6, v1
	s_waitcnt lgkmcnt(0)
	s_add_u32 s4, s2, s4
	s_addc_u32 s5, s3, s5
	v_mad_u64_u32 v[6:7], s[2:3], v4, s23, v[6:7]
	v_mov_b32_e32 v1, v6
	v_mul_lo_u32 v6, v3, s24
	v_mul_lo_u32 v7, v2, s25
	v_mad_u64_u32 v[2:3], s[2:3], v2, s24, 0
	v_lshlrev_b64 v[0:1], 3, v[0:1]
	v_add3_u32 v3, v3, v7, v6
	v_mov_b32_e32 v6, s5
	v_add_co_u32_e32 v7, vcc, s4, v0
	v_addc_co_u32_e32 v6, vcc, v6, v1, vcc
	v_lshlrev_b64 v[0:1], 3, v[2:3]
	v_add_co_u32_e32 v0, vcc, v7, v0
	v_addc_co_u32_e32 v1, vcc, v6, v1, vcc
	global_load_dwordx2 v[2:3], v[0:1], off
	s_add_u32 s2, s12, -1
	v_cmp_lt_i64_e64 s[4:5], s[12:13], 2
	s_addc_u32 s3, s13, -1
	s_and_b64 vcc, exec, s[4:5]
	s_cbranch_vccnz .LBB27_12
; %bb.2:
	v_mad_u64_u32 v[10:11], s[4:5], v4, s18, 0
	v_mov_b32_e32 v6, v11
	v_mad_u64_u32 v[6:7], s[4:5], v4, s19, v[6:7]
	s_add_u32 s4, s0, s18
	v_mov_b32_e32 v11, v6
	v_mad_u64_u32 v[6:7], s[4:5], s4, v4, 0
	s_addc_u32 s6, s1, s19
	v_mov_b32_e32 v12, v7
	v_mad_u64_u32 v[12:13], s[4:5], s6, v4, v[12:13]
	v_mov_b32_e32 v7, v12
	v_lshlrev_b64 v[6:7], 3, v[6:7]
	v_mov_b32_e32 v9, s15
	v_add_co_u32_e32 v6, vcc, s14, v6
	v_addc_co_u32_e32 v7, vcc, v9, v7, vcc
	v_lshl_add_u32 v12, v8, 3, 0
	v_lshlrev_b64 v[8:9], 3, v[10:11]
	v_mov_b32_e32 v10, s15
	v_add_co_u32_e32 v8, vcc, s14, v8
	v_addc_co_u32_e32 v9, vcc, v10, v9, vcc
	s_lshl_b64 s[4:5], s[0:1], 3
	s_mov_b64 s[6:7], 0
	s_branch .LBB27_4
.LBB27_3:                               ;   in Loop: Header=BB27_4 Depth=1
	s_or_b64 exec, exec, s[8:9]
	s_add_u32 s6, s6, 1
	s_waitcnt vmcnt(0)
	v_pk_add_f32 v[2:3], v[2:3], v[10:11] neg_lo:[0,1] neg_hi:[0,1]
	s_addc_u32 s7, s7, 0
	v_mov_b32_e32 v10, s5
	v_add_co_u32_e32 v8, vcc, s4, v8
	s_cmp_eq_u64 s[2:3], s[6:7]
	v_addc_co_u32_e32 v9, vcc, v9, v10, vcc
	s_cbranch_scc1 .LBB27_12
.LBB27_4:                               ; =>This Inner Loop Header: Depth=1
	v_cmp_eq_u64_e32 vcc, s[6:7], v[4:5]
	s_barrier
	s_and_saveexec_b64 s[8:9], vcc
	s_cbranch_execz .LBB27_10
; %bb.5:                                ;   in Loop: Header=BB27_4 Depth=1
	global_load_dwordx2 v[10:11], v[6:7], off
	s_waitcnt vmcnt(0)
	v_cmp_gt_f32_e32 vcc, 0, v11
	v_cndmask_b32_e64 v13, v11, -v11, vcc
	v_cmp_gt_f32_e32 vcc, 0, v10
	v_cndmask_b32_e64 v14, v10, -v10, vcc
	v_cmp_ngt_f32_e32 vcc, v14, v13
	s_and_saveexec_b64 s[10:11], vcc
	s_xor_b64 s[10:11], exec, s[10:11]
	s_cbranch_execz .LBB27_7
; %bb.6:                                ;   in Loop: Header=BB27_4 Depth=1
	v_div_scale_f32 v13, s[12:13], v11, v11, v10
	v_rcp_f32_e32 v14, v13
	v_div_scale_f32 v15, vcc, v10, v11, v10
	v_fma_f32 v16, -v13, v14, 1.0
	v_fmac_f32_e32 v14, v16, v14
	v_mul_f32_e32 v16, v15, v14
	v_fma_f32 v17, -v13, v16, v15
	v_fmac_f32_e32 v16, v17, v14
	v_fma_f32 v13, -v13, v16, v15
	v_div_fmas_f32 v13, v13, v14, v16
	v_div_fixup_f32 v14, v13, v11, v10
	v_fmac_f32_e32 v11, v10, v14
	v_div_scale_f32 v10, s[12:13], v11, v11, 1.0
	v_rcp_f32_e32 v13, v10
	v_fma_f32 v15, -v10, v13, 1.0
	v_fmac_f32_e32 v13, v15, v13
	v_div_scale_f32 v15, vcc, 1.0, v11, 1.0
	v_mul_f32_e32 v16, v15, v13
	v_fma_f32 v17, -v10, v16, v15
	v_fmac_f32_e32 v16, v17, v13
	v_fma_f32 v10, -v10, v16, v15
	v_div_fmas_f32 v10, v10, v13, v16
	v_pk_fma_f32 v[16:17], v[2:3], v[14:15], v[2:3] op_sel:[0,0,1] op_sel_hi:[1,0,0] neg_lo:[0,0,1] neg_hi:[0,0,1]
	v_pk_fma_f32 v[2:3], v[2:3], v[14:15], v[2:3] op_sel:[0,0,1] op_sel_hi:[1,0,0]
	v_div_fixup_f32 v10, v10, v11, 1.0
	v_mov_b32_e32 v3, v17
	v_pk_mul_f32 v[2:3], v[2:3], v[10:11] op_sel_hi:[1,0]
                                        ; implicit-def: $vgpr10_vgpr11
.LBB27_7:                               ;   in Loop: Header=BB27_4 Depth=1
	s_andn2_saveexec_b64 s[10:11], s[10:11]
	s_cbranch_execz .LBB27_9
; %bb.8:                                ;   in Loop: Header=BB27_4 Depth=1
	v_div_scale_f32 v13, s[12:13], v10, v10, v11
	v_rcp_f32_e32 v14, v13
	v_div_scale_f32 v15, vcc, v11, v10, v11
	v_fma_f32 v16, -v13, v14, 1.0
	v_fmac_f32_e32 v14, v16, v14
	v_mul_f32_e32 v16, v15, v14
	v_fma_f32 v17, -v13, v16, v15
	v_fmac_f32_e32 v16, v17, v14
	v_fma_f32 v13, -v13, v16, v15
	v_div_fmas_f32 v13, v13, v14, v16
	v_div_fixup_f32 v14, v13, v10, v11
	v_fmac_f32_e32 v10, v11, v14
	v_div_scale_f32 v11, s[12:13], v10, v10, 1.0
	v_rcp_f32_e32 v13, v11
	v_fma_f32 v15, -v11, v13, 1.0
	v_fmac_f32_e32 v13, v15, v13
	v_div_scale_f32 v15, vcc, 1.0, v10, 1.0
	v_mul_f32_e32 v16, v15, v13
	v_fma_f32 v17, -v11, v16, v15
	v_fmac_f32_e32 v16, v17, v13
	v_fma_f32 v11, -v11, v16, v15
	v_pk_mul_f32 v[14:15], v[2:3], v[14:15] op_sel_hi:[1,0]
	v_div_fmas_f32 v11, v11, v13, v16
	v_pk_add_f32 v[16:17], v[2:3], v[14:15] op_sel:[0,1] op_sel_hi:[1,0] neg_lo:[0,1] neg_hi:[0,1]
	v_pk_add_f32 v[2:3], v[2:3], v[14:15] op_sel:[0,1] op_sel_hi:[1,0]
	v_div_fixup_f32 v10, v11, v10, 1.0
	v_mov_b32_e32 v3, v17
	v_pk_mul_f32 v[2:3], v[2:3], v[10:11] op_sel_hi:[1,0]
.LBB27_9:                               ;   in Loop: Header=BB27_4 Depth=1
	s_or_b64 exec, exec, s[10:11]
	ds_write_b64 v12, v[2:3]
.LBB27_10:                              ;   in Loop: Header=BB27_4 Depth=1
	s_or_b64 exec, exec, s[8:9]
	v_mov_b32_e32 v10, 0
	v_cmp_lt_u64_e32 vcc, s[6:7], v[4:5]
	v_mov_b32_e32 v11, v10
	s_waitcnt lgkmcnt(0)
	s_barrier
	s_and_saveexec_b64 s[8:9], vcc
	s_cbranch_execz .LBB27_3
; %bb.11:                               ;   in Loop: Header=BB27_4 Depth=1
	global_load_dwordx2 v[10:11], v[8:9], off
	ds_read_b64 v[14:15], v12
	s_waitcnt vmcnt(0) lgkmcnt(0)
	v_pk_mul_f32 v[16:17], v[14:15], v[10:11] op_sel:[0,1]
	v_pk_mul_f32 v[18:19], v[14:15], v[10:11] op_sel_hi:[1,0]
	v_pk_fma_f32 v[10:11], v[14:15], v[10:11], v[16:17] op_sel:[0,0,1] op_sel_hi:[1,0,0]
	v_sub_f32_e32 v10, v18, v17
	s_branch .LBB27_3
.LBB27_12:
	v_cmp_eq_u64_e32 vcc, s[2:3], v[4:5]
	s_and_saveexec_b64 s[2:3], vcc
	s_cbranch_execz .LBB27_18
; %bb.13:
	s_add_u32 s0, s0, s18
	s_addc_u32 s4, s1, s19
	v_mad_u64_u32 v[6:7], s[0:1], s0, v4, 0
	v_mov_b32_e32 v8, v7
	v_mad_u64_u32 v[4:5], s[0:1], s4, v4, v[8:9]
	v_mov_b32_e32 v7, v4
	v_lshlrev_b64 v[4:5], 3, v[6:7]
	v_mov_b32_e32 v6, s15
	v_add_co_u32_e32 v4, vcc, s14, v4
	v_addc_co_u32_e32 v5, vcc, v6, v5, vcc
	global_load_dwordx2 v[4:5], v[4:5], off
	s_waitcnt vmcnt(0)
	v_cmp_gt_f32_e32 vcc, 0, v5
	v_cndmask_b32_e64 v6, v5, -v5, vcc
	v_cmp_gt_f32_e32 vcc, 0, v4
	v_cndmask_b32_e64 v7, v4, -v4, vcc
	v_cmp_ngt_f32_e32 vcc, v7, v6
	s_and_saveexec_b64 s[0:1], vcc
	s_xor_b64 s[0:1], exec, s[0:1]
	s_cbranch_execz .LBB27_15
; %bb.14:
	v_div_scale_f32 v6, s[4:5], v5, v5, v4
	v_rcp_f32_e32 v7, v6
	v_div_scale_f32 v8, vcc, v4, v5, v4
	v_fma_f32 v9, -v6, v7, 1.0
	v_fmac_f32_e32 v7, v9, v7
	v_mul_f32_e32 v9, v8, v7
	v_fma_f32 v10, -v6, v9, v8
	v_fmac_f32_e32 v9, v10, v7
	v_fma_f32 v6, -v6, v9, v8
	v_div_fmas_f32 v6, v6, v7, v9
	v_div_fixup_f32 v6, v6, v5, v4
	v_fmac_f32_e32 v5, v4, v6
	v_div_scale_f32 v4, s[4:5], v5, v5, 1.0
	v_rcp_f32_e32 v7, v4
	v_fma_f32 v8, -v4, v7, 1.0
	v_fmac_f32_e32 v7, v8, v7
	v_div_scale_f32 v8, vcc, 1.0, v5, 1.0
	v_mul_f32_e32 v9, v8, v7
	v_fma_f32 v10, -v4, v9, v8
	v_fmac_f32_e32 v9, v10, v7
	v_fma_f32 v4, -v4, v9, v8
	v_div_fmas_f32 v4, v4, v7, v9
	v_div_fixup_f32 v4, v4, v5, 1.0
	v_fma_f32 v5, v2, v6, v3
	v_mul_f32_e32 v5, v5, v4
	v_fma_f32 v2, v3, v6, -v2
	v_mul_f32_e32 v3, v2, v4
	v_mov_b32_e32 v2, v5
                                        ; implicit-def: $vgpr4_vgpr5
.LBB27_15:
	s_andn2_saveexec_b64 s[0:1], s[0:1]
	s_cbranch_execz .LBB27_17
; %bb.16:
	v_div_scale_f32 v6, s[4:5], v4, v4, v5
	v_rcp_f32_e32 v7, v6
	v_div_scale_f32 v8, vcc, v5, v4, v5
	v_fma_f32 v9, -v6, v7, 1.0
	v_fmac_f32_e32 v7, v9, v7
	v_mul_f32_e32 v9, v8, v7
	v_fma_f32 v10, -v6, v9, v8
	v_fmac_f32_e32 v9, v10, v7
	v_fma_f32 v6, -v6, v9, v8
	v_div_fmas_f32 v6, v6, v7, v9
	v_div_fixup_f32 v6, v6, v4, v5
	v_fmac_f32_e32 v4, v5, v6
	v_div_scale_f32 v5, s[4:5], v4, v4, 1.0
	v_rcp_f32_e32 v7, v5
	v_fma_f32 v8, -v5, v7, 1.0
	v_fmac_f32_e32 v7, v8, v7
	v_div_scale_f32 v8, vcc, 1.0, v4, 1.0
	v_mul_f32_e32 v9, v8, v7
	v_fma_f32 v10, -v5, v9, v8
	v_fmac_f32_e32 v9, v10, v7
	v_fma_f32 v5, -v5, v9, v8
	v_div_fmas_f32 v5, v5, v7, v9
	v_div_fixup_f32 v4, v5, v4, 1.0
	v_fma_f32 v5, v3, v6, v2
	v_mul_f32_e32 v5, v5, v4
	v_fma_f32 v2, -v2, v6, v3
	v_mul_f32_e32 v3, v2, v4
	v_mov_b32_e32 v2, v5
.LBB27_17:
	s_or_b64 exec, exec, s[0:1]
.LBB27_18:
	s_or_b64 exec, exec, s[2:3]
	s_waitcnt vmcnt(0)
	global_store_dwordx2 v[0:1], v[2:3], off
.LBB27_19:
	s_endpgm
	.section	.rodata,"a",@progbits
	.p2align	6, 0x0
	.amdhsa_kernel _ZN9rocsolver6v33100L35nonunit_forward_substitution_kernelI19rocblas_complex_numIfElPKPS3_EEvT0_S7_T1_S7_S7_llS8_S7_S7_ll
		.amdhsa_group_segment_fixed_size 0
		.amdhsa_private_segment_fixed_size 0
		.amdhsa_kernarg_size 352
		.amdhsa_user_sgpr_count 6
		.amdhsa_user_sgpr_private_segment_buffer 1
		.amdhsa_user_sgpr_dispatch_ptr 0
		.amdhsa_user_sgpr_queue_ptr 0
		.amdhsa_user_sgpr_kernarg_segment_ptr 1
		.amdhsa_user_sgpr_dispatch_id 0
		.amdhsa_user_sgpr_flat_scratch_init 0
		.amdhsa_user_sgpr_kernarg_preload_length 0
		.amdhsa_user_sgpr_kernarg_preload_offset 0
		.amdhsa_user_sgpr_private_segment_size 0
		.amdhsa_uses_dynamic_stack 0
		.amdhsa_system_sgpr_private_segment_wavefront_offset 0
		.amdhsa_system_sgpr_workgroup_id_x 1
		.amdhsa_system_sgpr_workgroup_id_y 1
		.amdhsa_system_sgpr_workgroup_id_z 1
		.amdhsa_system_sgpr_workgroup_info 0
		.amdhsa_system_vgpr_workitem_id 1
		.amdhsa_next_free_vgpr 20
		.amdhsa_next_free_sgpr 28
		.amdhsa_accum_offset 20
		.amdhsa_reserve_vcc 1
		.amdhsa_reserve_flat_scratch 0
		.amdhsa_float_round_mode_32 0
		.amdhsa_float_round_mode_16_64 0
		.amdhsa_float_denorm_mode_32 3
		.amdhsa_float_denorm_mode_16_64 3
		.amdhsa_dx10_clamp 1
		.amdhsa_ieee_mode 1
		.amdhsa_fp16_overflow 0
		.amdhsa_tg_split 0
		.amdhsa_exception_fp_ieee_invalid_op 0
		.amdhsa_exception_fp_denorm_src 0
		.amdhsa_exception_fp_ieee_div_zero 0
		.amdhsa_exception_fp_ieee_overflow 0
		.amdhsa_exception_fp_ieee_underflow 0
		.amdhsa_exception_fp_ieee_inexact 0
		.amdhsa_exception_int_div_zero 0
	.end_amdhsa_kernel
	.section	.text._ZN9rocsolver6v33100L35nonunit_forward_substitution_kernelI19rocblas_complex_numIfElPKPS3_EEvT0_S7_T1_S7_S7_llS8_S7_S7_ll,"axG",@progbits,_ZN9rocsolver6v33100L35nonunit_forward_substitution_kernelI19rocblas_complex_numIfElPKPS3_EEvT0_S7_T1_S7_S7_llS8_S7_S7_ll,comdat
.Lfunc_end27:
	.size	_ZN9rocsolver6v33100L35nonunit_forward_substitution_kernelI19rocblas_complex_numIfElPKPS3_EEvT0_S7_T1_S7_S7_llS8_S7_S7_ll, .Lfunc_end27-_ZN9rocsolver6v33100L35nonunit_forward_substitution_kernelI19rocblas_complex_numIfElPKPS3_EEvT0_S7_T1_S7_S7_llS8_S7_S7_ll
                                        ; -- End function
	.section	.AMDGPU.csdata,"",@progbits
; Kernel info:
; codeLenInByte = 1476
; NumSgprs: 32
; NumVgprs: 20
; NumAgprs: 0
; TotalNumVgprs: 20
; ScratchSize: 0
; MemoryBound: 0
; FloatMode: 240
; IeeeMode: 1
; LDSByteSize: 0 bytes/workgroup (compile time only)
; SGPRBlocks: 3
; VGPRBlocks: 2
; NumSGPRsForWavesPerEU: 32
; NumVGPRsForWavesPerEU: 20
; AccumOffset: 20
; Occupancy: 8
; WaveLimiterHint : 1
; COMPUTE_PGM_RSRC2:SCRATCH_EN: 0
; COMPUTE_PGM_RSRC2:USER_SGPR: 6
; COMPUTE_PGM_RSRC2:TRAP_HANDLER: 0
; COMPUTE_PGM_RSRC2:TGID_X_EN: 1
; COMPUTE_PGM_RSRC2:TGID_Y_EN: 1
; COMPUTE_PGM_RSRC2:TGID_Z_EN: 1
; COMPUTE_PGM_RSRC2:TIDIG_COMP_CNT: 1
; COMPUTE_PGM_RSRC3_GFX90A:ACCUM_OFFSET: 4
; COMPUTE_PGM_RSRC3_GFX90A:TG_SPLIT: 0
	.section	.text._ZN9rocsolver6v33100L38conj_unit_backward_substitution_kernelI19rocblas_complex_numIfElPKPS3_EEvT0_S7_T1_S7_S7_llS8_S7_S7_ll,"axG",@progbits,_ZN9rocsolver6v33100L38conj_unit_backward_substitution_kernelI19rocblas_complex_numIfElPKPS3_EEvT0_S7_T1_S7_S7_llS8_S7_S7_ll,comdat
	.globl	_ZN9rocsolver6v33100L38conj_unit_backward_substitution_kernelI19rocblas_complex_numIfElPKPS3_EEvT0_S7_T1_S7_S7_llS8_S7_S7_ll ; -- Begin function _ZN9rocsolver6v33100L38conj_unit_backward_substitution_kernelI19rocblas_complex_numIfElPKPS3_EEvT0_S7_T1_S7_S7_llS8_S7_S7_ll
	.p2align	8
	.type	_ZN9rocsolver6v33100L38conj_unit_backward_substitution_kernelI19rocblas_complex_numIfElPKPS3_EEvT0_S7_T1_S7_S7_llS8_S7_S7_ll,@function
_ZN9rocsolver6v33100L38conj_unit_backward_substitution_kernelI19rocblas_complex_numIfElPKPS3_EEvT0_S7_T1_S7_S7_llS8_S7_S7_ll: ; @_ZN9rocsolver6v33100L38conj_unit_backward_substitution_kernelI19rocblas_complex_numIfElPKPS3_EEvT0_S7_T1_S7_S7_llS8_S7_S7_ll
; %bb.0:
	s_load_dword s0, s[4:5], 0x6c
	s_load_dwordx8 s[12:19], s[4:5], 0x0
	v_mov_b32_e32 v1, 0
	v_bfe_u32 v6, v0, 10, 10
	v_mov_b32_e32 v7, v1
	s_waitcnt lgkmcnt(0)
	s_lshr_b32 s0, s0, 16
	v_mov_b32_e32 v2, s7
	v_mad_u64_u32 v[2:3], s[0:1], s0, v2, v[6:7]
	v_cmp_gt_i64_e32 vcc, s[14:15], v[2:3]
	s_and_saveexec_b64 s[0:1], vcc
	s_cbranch_execz .LBB28_10
; %bb.1:
	s_load_dwordx8 s[20:27], s[4:5], 0x38
	s_mov_b32 s9, 0
	s_lshl_b64 s[6:7], s[8:9], 3
	v_and_b32_e32 v0, 0x3ff, v0
	s_waitcnt lgkmcnt(0)
	s_add_u32 s0, s20, s6
	s_addc_u32 s1, s21, s7
	s_load_dwordx2 s[0:1], s[0:1], 0x0
	v_mad_u64_u32 v[4:5], s[2:3], v0, s22, 0
	s_lshl_b64 s[2:3], s[26:27], 3
	v_mov_b32_e32 v8, v5
	s_waitcnt lgkmcnt(0)
	s_add_u32 s2, s0, s2
	s_addc_u32 s3, s1, s3
	v_mad_u64_u32 v[8:9], s[0:1], v0, s23, v[8:9]
	v_mov_b32_e32 v5, v8
	v_mul_lo_u32 v7, v3, s24
	v_mul_lo_u32 v8, v2, s25
	v_mad_u64_u32 v[2:3], s[0:1], v2, s24, 0
	v_lshlrev_b64 v[4:5], 3, v[4:5]
	v_add3_u32 v3, v3, v8, v7
	v_mov_b32_e32 v7, s3
	v_add_co_u32_e32 v4, vcc, s2, v4
	v_addc_co_u32_e32 v5, vcc, v7, v5, vcc
	v_lshlrev_b64 v[2:3], 3, v[2:3]
	v_add_co_u32_e32 v2, vcc, v4, v2
	v_addc_co_u32_e32 v3, vcc, v5, v3, vcc
	global_load_dwordx2 v[4:5], v[2:3], off
	s_load_dwordx4 s[0:3], s[4:5], 0x20
	v_cmp_lt_i64_e64 s[4:5], s[12:13], 2
	s_and_b64 vcc, exec, s[4:5]
	s_cbranch_vccnz .LBB28_9
; %bb.2:
	s_add_u32 s4, s16, s6
	s_addc_u32 s5, s17, s7
	s_load_dwordx2 s[6:7], s[4:5], 0x0
	s_add_u32 s4, s12, -1
	s_addc_u32 s5, s13, -1
	s_waitcnt lgkmcnt(0)
	s_mul_i32 s8, s0, s5
	s_mul_hi_u32 s9, s0, s4
	s_add_i32 s8, s9, s8
	s_mul_i32 s9, s1, s4
	s_add_i32 s9, s8, s9
	s_mul_i32 s8, s0, s4
	v_lshl_add_u32 v10, v6, 3, 0
	s_lshl_b64 s[8:9], s[8:9], 3
	v_mad_u64_u32 v[6:7], s[10:11], s18, v0, 0
	s_lshl_b64 s[2:3], s[2:3], 3
	v_mov_b32_e32 v8, v7
	s_add_u32 s2, s6, s2
	v_mad_u64_u32 v[8:9], s[10:11], s19, v0, v[8:9]
	s_addc_u32 s3, s7, s3
	v_mov_b32_e32 v7, v8
	s_add_u32 s2, s2, s8
	v_lshlrev_b64 v[6:7], 3, v[6:7]
	s_addc_u32 s3, s3, s9
	v_mov_b32_e32 v8, s3
	v_add_co_u32_e32 v6, vcc, s2, v6
	s_lshl_b64 s[0:1], s[0:1], 3
	v_addc_co_u32_e32 v7, vcc, v8, v7, vcc
	s_sub_u32 s2, 0, s0
	v_add_co_u32_e32 v6, vcc, 4, v6
	s_subb_u32 s0, 0, s1
	v_addc_co_u32_e32 v7, vcc, 0, v7, vcc
	v_mov_b32_e32 v11, s0
.LBB28_3:                               ; =>This Inner Loop Header: Depth=1
	v_cmp_eq_u64_e32 vcc, s[4:5], v[0:1]
	s_barrier
	s_and_saveexec_b64 s[0:1], vcc
	s_cbranch_execz .LBB28_5
; %bb.4:                                ;   in Loop: Header=BB28_3 Depth=1
	s_waitcnt vmcnt(0)
	ds_write_b64 v10, v[4:5]
.LBB28_5:                               ;   in Loop: Header=BB28_3 Depth=1
	s_or_b64 exec, exec, s[0:1]
	v_cmp_gt_i64_e32 vcc, s[4:5], v[0:1]
	v_mov_b32_e32 v8, 0
	v_mov_b32_e32 v9, 0
	s_waitcnt lgkmcnt(0)
	s_barrier
	s_and_saveexec_b64 s[0:1], vcc
	s_cbranch_execz .LBB28_7
; %bb.6:                                ;   in Loop: Header=BB28_3 Depth=1
	global_load_dwordx2 v[8:9], v[6:7], off offset:-4
	ds_read_b64 v[12:13], v10
	s_waitcnt vmcnt(0) lgkmcnt(0)
	v_pk_mul_f32 v[16:17], v[8:9], v[12:13] op_sel:[1,0]
	v_pk_mul_f32 v[14:15], v[8:9], v[12:13] op_sel_hi:[0,1]
	v_pk_fma_f32 v[8:9], v[8:9], v[12:13], v[16:17] op_sel:[0,0,1] op_sel_hi:[0,1,0] neg_lo:[0,0,1] neg_hi:[0,0,1]
	v_add_f32_e32 v8, v14, v17
.LBB28_7:                               ;   in Loop: Header=BB28_3 Depth=1
	s_or_b64 exec, exec, s[0:1]
	s_add_u32 s0, s4, -1
	s_addc_u32 s1, s5, -1
	s_add_u32 s4, s4, 1
	s_addc_u32 s5, s5, 0
	v_add_co_u32_e32 v6, vcc, s2, v6
	v_addc_co_u32_e32 v7, vcc, v7, v11, vcc
	v_cmp_lt_u64_e64 s[4:5], s[4:5], 3
	s_waitcnt vmcnt(0)
	v_pk_add_f32 v[4:5], v[4:5], v[8:9] neg_lo:[0,1] neg_hi:[0,1]
	s_and_b64 vcc, exec, s[4:5]
	s_cbranch_vccnz .LBB28_9
; %bb.8:                                ;   in Loop: Header=BB28_3 Depth=1
	s_mov_b64 s[4:5], s[0:1]
	s_branch .LBB28_3
.LBB28_9:
	s_waitcnt vmcnt(0)
	global_store_dwordx2 v[2:3], v[4:5], off
.LBB28_10:
	s_endpgm
	.section	.rodata,"a",@progbits
	.p2align	6, 0x0
	.amdhsa_kernel _ZN9rocsolver6v33100L38conj_unit_backward_substitution_kernelI19rocblas_complex_numIfElPKPS3_EEvT0_S7_T1_S7_S7_llS8_S7_S7_ll
		.amdhsa_group_segment_fixed_size 0
		.amdhsa_private_segment_fixed_size 0
		.amdhsa_kernarg_size 352
		.amdhsa_user_sgpr_count 6
		.amdhsa_user_sgpr_private_segment_buffer 1
		.amdhsa_user_sgpr_dispatch_ptr 0
		.amdhsa_user_sgpr_queue_ptr 0
		.amdhsa_user_sgpr_kernarg_segment_ptr 1
		.amdhsa_user_sgpr_dispatch_id 0
		.amdhsa_user_sgpr_flat_scratch_init 0
		.amdhsa_user_sgpr_kernarg_preload_length 0
		.amdhsa_user_sgpr_kernarg_preload_offset 0
		.amdhsa_user_sgpr_private_segment_size 0
		.amdhsa_uses_dynamic_stack 0
		.amdhsa_system_sgpr_private_segment_wavefront_offset 0
		.amdhsa_system_sgpr_workgroup_id_x 1
		.amdhsa_system_sgpr_workgroup_id_y 1
		.amdhsa_system_sgpr_workgroup_id_z 1
		.amdhsa_system_sgpr_workgroup_info 0
		.amdhsa_system_vgpr_workitem_id 1
		.amdhsa_next_free_vgpr 18
		.amdhsa_next_free_sgpr 28
		.amdhsa_accum_offset 20
		.amdhsa_reserve_vcc 1
		.amdhsa_reserve_flat_scratch 0
		.amdhsa_float_round_mode_32 0
		.amdhsa_float_round_mode_16_64 0
		.amdhsa_float_denorm_mode_32 3
		.amdhsa_float_denorm_mode_16_64 3
		.amdhsa_dx10_clamp 1
		.amdhsa_ieee_mode 1
		.amdhsa_fp16_overflow 0
		.amdhsa_tg_split 0
		.amdhsa_exception_fp_ieee_invalid_op 0
		.amdhsa_exception_fp_denorm_src 0
		.amdhsa_exception_fp_ieee_div_zero 0
		.amdhsa_exception_fp_ieee_overflow 0
		.amdhsa_exception_fp_ieee_underflow 0
		.amdhsa_exception_fp_ieee_inexact 0
		.amdhsa_exception_int_div_zero 0
	.end_amdhsa_kernel
	.section	.text._ZN9rocsolver6v33100L38conj_unit_backward_substitution_kernelI19rocblas_complex_numIfElPKPS3_EEvT0_S7_T1_S7_S7_llS8_S7_S7_ll,"axG",@progbits,_ZN9rocsolver6v33100L38conj_unit_backward_substitution_kernelI19rocblas_complex_numIfElPKPS3_EEvT0_S7_T1_S7_S7_llS8_S7_S7_ll,comdat
.Lfunc_end28:
	.size	_ZN9rocsolver6v33100L38conj_unit_backward_substitution_kernelI19rocblas_complex_numIfElPKPS3_EEvT0_S7_T1_S7_S7_llS8_S7_S7_ll, .Lfunc_end28-_ZN9rocsolver6v33100L38conj_unit_backward_substitution_kernelI19rocblas_complex_numIfElPKPS3_EEvT0_S7_T1_S7_S7_llS8_S7_S7_ll
                                        ; -- End function
	.section	.AMDGPU.csdata,"",@progbits
; Kernel info:
; codeLenInByte = 588
; NumSgprs: 32
; NumVgprs: 18
; NumAgprs: 0
; TotalNumVgprs: 18
; ScratchSize: 0
; MemoryBound: 0
; FloatMode: 240
; IeeeMode: 1
; LDSByteSize: 0 bytes/workgroup (compile time only)
; SGPRBlocks: 3
; VGPRBlocks: 2
; NumSGPRsForWavesPerEU: 32
; NumVGPRsForWavesPerEU: 18
; AccumOffset: 20
; Occupancy: 8
; WaveLimiterHint : 1
; COMPUTE_PGM_RSRC2:SCRATCH_EN: 0
; COMPUTE_PGM_RSRC2:USER_SGPR: 6
; COMPUTE_PGM_RSRC2:TRAP_HANDLER: 0
; COMPUTE_PGM_RSRC2:TGID_X_EN: 1
; COMPUTE_PGM_RSRC2:TGID_Y_EN: 1
; COMPUTE_PGM_RSRC2:TGID_Z_EN: 1
; COMPUTE_PGM_RSRC2:TIDIG_COMP_CNT: 1
; COMPUTE_PGM_RSRC3_GFX90A:ACCUM_OFFSET: 4
; COMPUTE_PGM_RSRC3_GFX90A:TG_SPLIT: 0
	.section	.text._ZN9rocsolver6v33100L41conj_nonunit_backward_substitution_kernelI19rocblas_complex_numIfElPKPS3_EEvT0_S7_T1_S7_S7_llS8_S7_S7_ll,"axG",@progbits,_ZN9rocsolver6v33100L41conj_nonunit_backward_substitution_kernelI19rocblas_complex_numIfElPKPS3_EEvT0_S7_T1_S7_S7_llS8_S7_S7_ll,comdat
	.globl	_ZN9rocsolver6v33100L41conj_nonunit_backward_substitution_kernelI19rocblas_complex_numIfElPKPS3_EEvT0_S7_T1_S7_S7_llS8_S7_S7_ll ; -- Begin function _ZN9rocsolver6v33100L41conj_nonunit_backward_substitution_kernelI19rocblas_complex_numIfElPKPS3_EEvT0_S7_T1_S7_S7_llS8_S7_S7_ll
	.p2align	8
	.type	_ZN9rocsolver6v33100L41conj_nonunit_backward_substitution_kernelI19rocblas_complex_numIfElPKPS3_EEvT0_S7_T1_S7_S7_llS8_S7_S7_ll,@function
_ZN9rocsolver6v33100L41conj_nonunit_backward_substitution_kernelI19rocblas_complex_numIfElPKPS3_EEvT0_S7_T1_S7_S7_llS8_S7_S7_ll: ; @_ZN9rocsolver6v33100L41conj_nonunit_backward_substitution_kernelI19rocblas_complex_numIfElPKPS3_EEvT0_S7_T1_S7_S7_llS8_S7_S7_ll
; %bb.0:
	s_load_dword s0, s[4:5], 0x6c
	s_load_dwordx8 s[12:19], s[4:5], 0x0
	v_mov_b32_e32 v5, 0
	v_bfe_u32 v8, v0, 10, 10
	v_mov_b32_e32 v9, v5
	s_waitcnt lgkmcnt(0)
	s_lshr_b32 s0, s0, 16
	v_mov_b32_e32 v1, s7
	v_mad_u64_u32 v[2:3], s[0:1], s0, v1, v[8:9]
	v_cmp_gt_i64_e32 vcc, s[14:15], v[2:3]
	s_and_saveexec_b64 s[0:1], vcc
	s_cbranch_execz .LBB29_20
; %bb.1:
	s_mov_b32 s9, 0
	s_lshl_b64 s[10:11], s[8:9], 3
	s_load_dwordx4 s[0:3], s[4:5], 0x20
	s_add_u32 s8, s16, s10
	s_addc_u32 s9, s17, s11
	s_load_dwordx2 s[6:7], s[8:9], 0x0
	s_load_dwordx8 s[20:27], s[4:5], 0x38
	v_and_b32_e32 v4, 0x3ff, v0
	s_waitcnt lgkmcnt(0)
	s_lshl_b64 s[8:9], s[2:3], 3
	s_add_u32 s2, s6, s8
	s_addc_u32 s3, s7, s9
	s_add_u32 s4, s20, s10
	s_addc_u32 s5, s21, s11
	s_load_dwordx2 s[4:5], s[4:5], 0x0
	v_mad_u64_u32 v[0:1], s[10:11], v4, s22, 0
	s_lshl_b64 s[10:11], s[26:27], 3
	v_mov_b32_e32 v6, v1
	s_waitcnt lgkmcnt(0)
	s_add_u32 s10, s4, s10
	s_addc_u32 s11, s5, s11
	v_mad_u64_u32 v[6:7], s[4:5], v4, s23, v[6:7]
	v_mov_b32_e32 v1, v6
	v_mul_lo_u32 v6, v3, s24
	v_mul_lo_u32 v7, v2, s25
	v_mad_u64_u32 v[2:3], s[4:5], v2, s24, 0
	v_lshlrev_b64 v[0:1], 3, v[0:1]
	v_add3_u32 v3, v3, v7, v6
	v_mov_b32_e32 v6, s11
	v_add_co_u32_e32 v7, vcc, s10, v0
	v_addc_co_u32_e32 v6, vcc, v6, v1, vcc
	v_lshlrev_b64 v[0:1], 3, v[2:3]
	v_add_co_u32_e32 v0, vcc, v7, v0
	v_addc_co_u32_e32 v1, vcc, v6, v1, vcc
	global_load_dwordx2 v[2:3], v[0:1], off
	v_cmp_lt_i64_e64 s[4:5], s[12:13], 2
	s_and_b64 vcc, exec, s[4:5]
	s_cbranch_vccnz .LBB29_13
; %bb.2:
	s_add_u32 s4, s0, s18
	v_mad_u64_u32 v[6:7], s[4:5], s4, v4, 0
	s_addc_u32 s10, s1, s19
	v_mov_b32_e32 v10, v7
	v_mad_u64_u32 v[10:11], s[4:5], s10, v4, v[10:11]
	s_add_u32 s4, s12, -1
	s_addc_u32 s5, s13, -1
	v_mov_b32_e32 v7, v10
	s_mul_i32 s10, s0, s5
	s_mul_hi_u32 s11, s0, s4
	v_lshlrev_b64 v[6:7], 3, v[6:7]
	s_add_i32 s10, s11, s10
	s_mul_i32 s11, s1, s4
	v_mov_b32_e32 v9, s3
	v_add_co_u32_e32 v6, vcc, s2, v6
	s_add_i32 s11, s10, s11
	s_mul_i32 s10, s0, s4
	v_addc_co_u32_e32 v7, vcc, v9, v7, vcc
	v_lshl_add_u32 v12, v8, 3, 0
	s_lshl_b64 s[10:11], s[10:11], 3
	v_mad_u64_u32 v[8:9], s[12:13], s18, v4, 0
	v_mov_b32_e32 v10, v9
	s_add_u32 s6, s6, s8
	v_mad_u64_u32 v[10:11], s[12:13], s19, v4, v[10:11]
	s_addc_u32 s7, s7, s9
	v_mov_b32_e32 v9, v10
	s_add_u32 s6, s6, s10
	v_lshlrev_b64 v[8:9], 3, v[8:9]
	s_addc_u32 s7, s7, s11
	v_mov_b32_e32 v10, s7
	v_add_co_u32_e32 v8, vcc, s6, v8
	v_addc_co_u32_e32 v9, vcc, v10, v9, vcc
	s_lshl_b64 s[0:1], s[0:1], 3
	v_add_co_u32_e32 v8, vcc, 4, v8
	s_sub_u32 s8, 0, s0
	v_addc_co_u32_e32 v9, vcc, 0, v9, vcc
	s_subb_u32 s9, 0, s1
.LBB29_3:                               ; =>This Inner Loop Header: Depth=1
	v_cmp_eq_u64_e32 vcc, s[4:5], v[4:5]
	s_barrier
	s_and_saveexec_b64 s[0:1], vcc
	s_cbranch_execz .LBB29_9
; %bb.4:                                ;   in Loop: Header=BB29_3 Depth=1
	global_load_dwordx2 v[10:11], v[6:7], off
	s_waitcnt vmcnt(0)
	v_cmp_gt_f32_e32 vcc, 0, v10
	v_cndmask_b32_e64 v13, v10, -v10, vcc
	v_cmp_lt_f32_e32 vcc, 0, v11
	v_cndmask_b32_e64 v14, -v11, v11, vcc
	v_cmp_ngt_f32_e32 vcc, v13, v14
	s_and_saveexec_b64 s[6:7], vcc
	s_xor_b64 s[6:7], exec, s[6:7]
	s_cbranch_execz .LBB29_6
; %bb.5:                                ;   in Loop: Header=BB29_3 Depth=1
	v_div_scale_f32 v13, s[10:11], -v11, -v11, v10
	v_rcp_f32_e32 v14, v13
	v_div_scale_f32 v15, vcc, v10, -v11, v10
	v_fma_f32 v16, -v13, v14, 1.0
	v_fmac_f32_e32 v14, v16, v14
	v_mul_f32_e32 v16, v15, v14
	v_fma_f32 v17, -v13, v16, v15
	v_fmac_f32_e32 v16, v17, v14
	v_fma_f32 v13, -v13, v16, v15
	v_div_fmas_f32 v13, v13, v14, v16
	v_div_fixup_f32 v13, v13, -v11, v10
	v_fma_f32 v10, v10, v13, -v11
	v_div_scale_f32 v11, s[10:11], v10, v10, 1.0
	v_rcp_f32_e32 v14, v11
	v_fma_f32 v15, -v11, v14, 1.0
	v_fmac_f32_e32 v14, v15, v14
	v_div_scale_f32 v15, vcc, 1.0, v10, 1.0
	v_mul_f32_e32 v16, v15, v14
	v_fma_f32 v17, -v11, v16, v15
	v_fmac_f32_e32 v16, v17, v14
	v_fma_f32 v11, -v11, v16, v15
	v_div_fmas_f32 v11, v11, v14, v16
	v_div_fixup_f32 v11, v11, v10, 1.0
	v_fma_f32 v10, v2, v13, v3
	v_fma_f32 v3, v3, v13, -v2
	v_mov_b32_e32 v2, v11
	v_pk_mul_f32 v[2:3], v[10:11], v[2:3]
                                        ; implicit-def: $vgpr10_vgpr11
.LBB29_6:                               ;   in Loop: Header=BB29_3 Depth=1
	s_andn2_saveexec_b64 s[6:7], s[6:7]
	s_cbranch_execz .LBB29_8
; %bb.7:                                ;   in Loop: Header=BB29_3 Depth=1
	v_div_scale_f32 v13, s[10:11], v10, v10, -v11
	v_rcp_f32_e32 v14, v13
	v_div_scale_f32 v15, vcc, -v11, v10, -v11
	v_fma_f32 v16, -v13, v14, 1.0
	v_fmac_f32_e32 v14, v16, v14
	v_mul_f32_e32 v16, v15, v14
	v_fma_f32 v17, -v13, v16, v15
	v_fmac_f32_e32 v16, v17, v14
	v_fma_f32 v13, -v13, v16, v15
	v_div_fmas_f32 v13, v13, v14, v16
	v_div_fixup_f32 v14, v13, v10, -v11
	v_fma_f32 v10, -v11, v14, v10
	v_div_scale_f32 v11, s[10:11], v10, v10, 1.0
	v_rcp_f32_e32 v13, v11
	v_fma_f32 v15, -v11, v13, 1.0
	v_fmac_f32_e32 v13, v15, v13
	v_div_scale_f32 v15, vcc, 1.0, v10, 1.0
	v_mul_f32_e32 v16, v15, v13
	v_fma_f32 v17, -v11, v16, v15
	v_fmac_f32_e32 v16, v17, v13
	v_fma_f32 v11, -v11, v16, v15
	v_pk_mul_f32 v[14:15], v[2:3], v[14:15] op_sel_hi:[1,0]
	v_div_fmas_f32 v11, v11, v13, v16
	v_pk_add_f32 v[16:17], v[2:3], v[14:15] op_sel:[0,1] op_sel_hi:[1,0]
	v_pk_add_f32 v[2:3], v[2:3], v[14:15] op_sel:[0,1] op_sel_hi:[1,0] neg_lo:[0,1] neg_hi:[0,1]
	v_div_fixup_f32 v10, v11, v10, 1.0
	v_mov_b32_e32 v17, v3
	v_pk_mul_f32 v[2:3], v[16:17], v[10:11] op_sel_hi:[1,0]
.LBB29_8:                               ;   in Loop: Header=BB29_3 Depth=1
	s_or_b64 exec, exec, s[6:7]
	ds_write_b64 v12, v[2:3]
.LBB29_9:                               ;   in Loop: Header=BB29_3 Depth=1
	s_or_b64 exec, exec, s[0:1]
	v_mov_b32_e32 v10, 0
	v_cmp_gt_i64_e32 vcc, s[4:5], v[4:5]
	v_mov_b32_e32 v11, v10
	s_waitcnt lgkmcnt(0)
	s_barrier
	s_and_saveexec_b64 s[0:1], vcc
	s_cbranch_execz .LBB29_11
; %bb.10:                               ;   in Loop: Header=BB29_3 Depth=1
	global_load_dwordx2 v[10:11], v[8:9], off offset:-4
	ds_read_b64 v[14:15], v12
	s_waitcnt vmcnt(0) lgkmcnt(0)
	v_pk_mul_f32 v[18:19], v[10:11], v[14:15] op_sel:[1,0]
	v_pk_mul_f32 v[16:17], v[10:11], v[14:15] op_sel_hi:[0,1]
	v_pk_fma_f32 v[10:11], v[10:11], v[14:15], v[18:19] op_sel:[0,0,1] op_sel_hi:[0,1,0] neg_lo:[0,0,1] neg_hi:[0,0,1]
	v_add_f32_e32 v10, v16, v19
.LBB29_11:                              ;   in Loop: Header=BB29_3 Depth=1
	s_or_b64 exec, exec, s[0:1]
	s_add_u32 s0, s4, -1
	s_addc_u32 s1, s5, -1
	s_add_u32 s4, s4, 1
	s_waitcnt vmcnt(0)
	v_pk_add_f32 v[2:3], v[2:3], v[10:11] neg_lo:[0,1] neg_hi:[0,1]
	s_addc_u32 s5, s5, 0
	v_mov_b32_e32 v10, s9
	v_add_co_u32_e32 v8, vcc, s8, v8
	v_addc_co_u32_e32 v9, vcc, v9, v10, vcc
	v_cmp_lt_u64_e64 s[4:5], s[4:5], 3
	s_and_b64 vcc, exec, s[4:5]
	s_cbranch_vccnz .LBB29_13
; %bb.12:                               ;   in Loop: Header=BB29_3 Depth=1
	s_mov_b64 s[4:5], s[0:1]
	s_branch .LBB29_3
.LBB29_13:
	v_cmp_eq_u32_e32 vcc, 0, v4
	s_and_saveexec_b64 s[0:1], vcc
	s_cbranch_execz .LBB29_19
; %bb.14:
	s_load_dwordx2 s[2:3], s[2:3], 0x0
	s_waitcnt lgkmcnt(0)
	v_mov_b32_e32 v4, s2
	v_cmp_lt_f32_e64 s[4:5], s2, 0
	v_mov_b32_e32 v5, s3
	v_cndmask_b32_e64 v4, v4, -v4, s[4:5]
	v_cmp_gt_f32_e64 s[4:5], s3, 0
	v_cndmask_b32_e64 v5, -v5, v5, s[4:5]
	v_cmp_ngt_f32_e32 vcc, v4, v5
	s_cbranch_vccz .LBB29_16
; %bb.15:
	v_mov_b32_e32 v4, s2
	v_div_scale_f32 v5, s[4:5], -s3, -s3, v4
	v_rcp_f32_e32 v6, v5
	v_mov_b32_e32 v7, s3
	v_fma_f32 v8, -v5, v6, 1.0
	v_fmac_f32_e32 v6, v8, v6
	v_div_scale_f32 v8, vcc, s2, -v7, s2
	v_mul_f32_e32 v9, v8, v6
	v_fma_f32 v10, -v5, v9, v8
	v_fmac_f32_e32 v9, v10, v6
	v_fma_f32 v5, -v5, v9, v8
	v_div_fmas_f32 v5, v5, v6, v9
	v_div_fixup_f32 v6, v5, -s3, v4
	v_fma_f32 v4, s2, v6, -v7
	v_div_scale_f32 v5, s[4:5], v4, v4, 1.0
	v_rcp_f32_e32 v7, v5
	v_fma_f32 v8, -v5, v7, 1.0
	v_fmac_f32_e32 v7, v8, v7
	v_div_scale_f32 v8, vcc, 1.0, v4, 1.0
	v_mul_f32_e32 v9, v8, v7
	v_fma_f32 v10, -v5, v9, v8
	v_fmac_f32_e32 v9, v10, v7
	v_fma_f32 v5, -v5, v9, v8
	v_div_fmas_f32 v5, v5, v7, v9
	v_div_fixup_f32 v5, v5, v4, 1.0
	s_waitcnt vmcnt(0)
	v_fma_f32 v4, v2, v6, v3
	v_fma_f32 v7, v3, v6, -v2
	v_mov_b32_e32 v6, v5
	v_pk_mul_f32 v[4:5], v[4:5], v[6:7]
	s_cbranch_execz .LBB29_17
	s_branch .LBB29_18
.LBB29_16:
                                        ; implicit-def: $vgpr4_vgpr5
.LBB29_17:
	v_mov_b32_e32 v4, s3
	v_div_scale_f32 v5, s[4:5], s2, s2, -v4
	v_rcp_f32_e32 v6, v5
	v_mov_b32_e32 v7, s2
	v_fma_f32 v8, -v5, v6, 1.0
	v_fmac_f32_e32 v6, v8, v6
	v_div_scale_f32 v8, vcc, -s3, v7, -s3
	v_mul_f32_e32 v9, v8, v6
	v_fma_f32 v10, -v5, v9, v8
	v_fmac_f32_e32 v9, v10, v6
	v_fma_f32 v5, -v5, v9, v8
	v_div_fmas_f32 v5, v5, v6, v9
	v_div_fixup_f32 v4, v5, s2, -v4
	v_fma_f32 v5, -s3, v4, v7
	v_div_scale_f32 v6, s[2:3], v5, v5, 1.0
	v_rcp_f32_e32 v7, v6
	v_fma_f32 v8, -v6, v7, 1.0
	v_fmac_f32_e32 v7, v8, v7
	v_div_scale_f32 v8, vcc, 1.0, v5, 1.0
	v_mul_f32_e32 v9, v8, v7
	v_fma_f32 v10, -v6, v9, v8
	v_fmac_f32_e32 v9, v10, v7
	v_fma_f32 v6, -v6, v9, v8
	v_div_fmas_f32 v6, v6, v7, v9
	v_div_fixup_f32 v6, v6, v5, 1.0
	s_waitcnt vmcnt(0)
	v_pk_mul_f32 v[4:5], v[2:3], v[4:5] op_sel_hi:[1,0]
	v_pk_add_f32 v[8:9], v[2:3], v[4:5] op_sel:[0,1] op_sel_hi:[1,0]
	v_pk_add_f32 v[2:3], v[2:3], v[4:5] op_sel:[0,1] op_sel_hi:[1,0] neg_lo:[0,1] neg_hi:[0,1]
	v_mov_b32_e32 v9, v3
	v_pk_mul_f32 v[4:5], v[8:9], v[6:7] op_sel_hi:[1,0]
.LBB29_18:
	s_waitcnt vmcnt(0)
	v_pk_mov_b32 v[2:3], v[4:5], v[4:5] op_sel:[0,1]
.LBB29_19:
	s_or_b64 exec, exec, s[0:1]
	s_waitcnt vmcnt(0)
	global_store_dwordx2 v[0:1], v[2:3], off
.LBB29_20:
	s_endpgm
	.section	.rodata,"a",@progbits
	.p2align	6, 0x0
	.amdhsa_kernel _ZN9rocsolver6v33100L41conj_nonunit_backward_substitution_kernelI19rocblas_complex_numIfElPKPS3_EEvT0_S7_T1_S7_S7_llS8_S7_S7_ll
		.amdhsa_group_segment_fixed_size 0
		.amdhsa_private_segment_fixed_size 0
		.amdhsa_kernarg_size 352
		.amdhsa_user_sgpr_count 6
		.amdhsa_user_sgpr_private_segment_buffer 1
		.amdhsa_user_sgpr_dispatch_ptr 0
		.amdhsa_user_sgpr_queue_ptr 0
		.amdhsa_user_sgpr_kernarg_segment_ptr 1
		.amdhsa_user_sgpr_dispatch_id 0
		.amdhsa_user_sgpr_flat_scratch_init 0
		.amdhsa_user_sgpr_kernarg_preload_length 0
		.amdhsa_user_sgpr_kernarg_preload_offset 0
		.amdhsa_user_sgpr_private_segment_size 0
		.amdhsa_uses_dynamic_stack 0
		.amdhsa_system_sgpr_private_segment_wavefront_offset 0
		.amdhsa_system_sgpr_workgroup_id_x 1
		.amdhsa_system_sgpr_workgroup_id_y 1
		.amdhsa_system_sgpr_workgroup_id_z 1
		.amdhsa_system_sgpr_workgroup_info 0
		.amdhsa_system_vgpr_workitem_id 1
		.amdhsa_next_free_vgpr 20
		.amdhsa_next_free_sgpr 28
		.amdhsa_accum_offset 20
		.amdhsa_reserve_vcc 1
		.amdhsa_reserve_flat_scratch 0
		.amdhsa_float_round_mode_32 0
		.amdhsa_float_round_mode_16_64 0
		.amdhsa_float_denorm_mode_32 3
		.amdhsa_float_denorm_mode_16_64 3
		.amdhsa_dx10_clamp 1
		.amdhsa_ieee_mode 1
		.amdhsa_fp16_overflow 0
		.amdhsa_tg_split 0
		.amdhsa_exception_fp_ieee_invalid_op 0
		.amdhsa_exception_fp_denorm_src 0
		.amdhsa_exception_fp_ieee_div_zero 0
		.amdhsa_exception_fp_ieee_overflow 0
		.amdhsa_exception_fp_ieee_underflow 0
		.amdhsa_exception_fp_ieee_inexact 0
		.amdhsa_exception_int_div_zero 0
	.end_amdhsa_kernel
	.section	.text._ZN9rocsolver6v33100L41conj_nonunit_backward_substitution_kernelI19rocblas_complex_numIfElPKPS3_EEvT0_S7_T1_S7_S7_llS8_S7_S7_ll,"axG",@progbits,_ZN9rocsolver6v33100L41conj_nonunit_backward_substitution_kernelI19rocblas_complex_numIfElPKPS3_EEvT0_S7_T1_S7_S7_llS8_S7_S7_ll,comdat
.Lfunc_end29:
	.size	_ZN9rocsolver6v33100L41conj_nonunit_backward_substitution_kernelI19rocblas_complex_numIfElPKPS3_EEvT0_S7_T1_S7_S7_llS8_S7_S7_ll, .Lfunc_end29-_ZN9rocsolver6v33100L41conj_nonunit_backward_substitution_kernelI19rocblas_complex_numIfElPKPS3_EEvT0_S7_T1_S7_S7_llS8_S7_S7_ll
                                        ; -- End function
	.section	.AMDGPU.csdata,"",@progbits
; Kernel info:
; codeLenInByte = 1560
; NumSgprs: 32
; NumVgprs: 20
; NumAgprs: 0
; TotalNumVgprs: 20
; ScratchSize: 0
; MemoryBound: 0
; FloatMode: 240
; IeeeMode: 1
; LDSByteSize: 0 bytes/workgroup (compile time only)
; SGPRBlocks: 3
; VGPRBlocks: 2
; NumSGPRsForWavesPerEU: 32
; NumVGPRsForWavesPerEU: 20
; AccumOffset: 20
; Occupancy: 8
; WaveLimiterHint : 1
; COMPUTE_PGM_RSRC2:SCRATCH_EN: 0
; COMPUTE_PGM_RSRC2:USER_SGPR: 6
; COMPUTE_PGM_RSRC2:TRAP_HANDLER: 0
; COMPUTE_PGM_RSRC2:TGID_X_EN: 1
; COMPUTE_PGM_RSRC2:TGID_Y_EN: 1
; COMPUTE_PGM_RSRC2:TGID_Z_EN: 1
; COMPUTE_PGM_RSRC2:TIDIG_COMP_CNT: 1
; COMPUTE_PGM_RSRC3_GFX90A:ACCUM_OFFSET: 4
; COMPUTE_PGM_RSRC3_GFX90A:TG_SPLIT: 0
	.section	.text._ZN9rocsolver6v33100L33unit_backward_substitution_kernelI19rocblas_complex_numIfElPKPS3_EEvT0_S7_T1_S7_S7_llS8_S7_S7_ll,"axG",@progbits,_ZN9rocsolver6v33100L33unit_backward_substitution_kernelI19rocblas_complex_numIfElPKPS3_EEvT0_S7_T1_S7_S7_llS8_S7_S7_ll,comdat
	.globl	_ZN9rocsolver6v33100L33unit_backward_substitution_kernelI19rocblas_complex_numIfElPKPS3_EEvT0_S7_T1_S7_S7_llS8_S7_S7_ll ; -- Begin function _ZN9rocsolver6v33100L33unit_backward_substitution_kernelI19rocblas_complex_numIfElPKPS3_EEvT0_S7_T1_S7_S7_llS8_S7_S7_ll
	.p2align	8
	.type	_ZN9rocsolver6v33100L33unit_backward_substitution_kernelI19rocblas_complex_numIfElPKPS3_EEvT0_S7_T1_S7_S7_llS8_S7_S7_ll,@function
_ZN9rocsolver6v33100L33unit_backward_substitution_kernelI19rocblas_complex_numIfElPKPS3_EEvT0_S7_T1_S7_S7_llS8_S7_S7_ll: ; @_ZN9rocsolver6v33100L33unit_backward_substitution_kernelI19rocblas_complex_numIfElPKPS3_EEvT0_S7_T1_S7_S7_llS8_S7_S7_ll
; %bb.0:
	s_load_dword s0, s[4:5], 0x6c
	s_load_dwordx8 s[12:19], s[4:5], 0x0
	v_mov_b32_e32 v1, 0
	v_bfe_u32 v6, v0, 10, 10
	v_mov_b32_e32 v7, v1
	s_waitcnt lgkmcnt(0)
	s_lshr_b32 s0, s0, 16
	v_mov_b32_e32 v2, s7
	v_mad_u64_u32 v[2:3], s[0:1], s0, v2, v[6:7]
	v_cmp_gt_i64_e32 vcc, s[14:15], v[2:3]
	s_and_saveexec_b64 s[0:1], vcc
	s_cbranch_execz .LBB30_10
; %bb.1:
	s_load_dwordx8 s[20:27], s[4:5], 0x38
	s_mov_b32 s9, 0
	s_lshl_b64 s[6:7], s[8:9], 3
	v_and_b32_e32 v0, 0x3ff, v0
	s_waitcnt lgkmcnt(0)
	s_add_u32 s0, s20, s6
	s_addc_u32 s1, s21, s7
	s_load_dwordx2 s[0:1], s[0:1], 0x0
	v_mad_u64_u32 v[4:5], s[2:3], v0, s22, 0
	s_lshl_b64 s[2:3], s[26:27], 3
	v_mov_b32_e32 v8, v5
	s_waitcnt lgkmcnt(0)
	s_add_u32 s2, s0, s2
	s_addc_u32 s3, s1, s3
	v_mad_u64_u32 v[8:9], s[0:1], v0, s23, v[8:9]
	v_mov_b32_e32 v5, v8
	v_mul_lo_u32 v7, v3, s24
	v_mul_lo_u32 v8, v2, s25
	v_mad_u64_u32 v[2:3], s[0:1], v2, s24, 0
	v_lshlrev_b64 v[4:5], 3, v[4:5]
	v_add3_u32 v3, v3, v8, v7
	v_mov_b32_e32 v7, s3
	v_add_co_u32_e32 v4, vcc, s2, v4
	v_addc_co_u32_e32 v5, vcc, v7, v5, vcc
	v_lshlrev_b64 v[2:3], 3, v[2:3]
	v_add_co_u32_e32 v2, vcc, v4, v2
	v_addc_co_u32_e32 v3, vcc, v5, v3, vcc
	global_load_dwordx2 v[4:5], v[2:3], off
	s_load_dwordx4 s[0:3], s[4:5], 0x20
	v_cmp_lt_i64_e64 s[4:5], s[12:13], 2
	s_and_b64 vcc, exec, s[4:5]
	s_cbranch_vccnz .LBB30_9
; %bb.2:
	s_add_u32 s4, s16, s6
	s_addc_u32 s5, s17, s7
	s_load_dwordx2 s[6:7], s[4:5], 0x0
	s_add_u32 s4, s12, -1
	s_addc_u32 s5, s13, -1
	s_waitcnt lgkmcnt(0)
	s_mul_i32 s8, s0, s5
	s_mul_hi_u32 s9, s0, s4
	s_add_i32 s8, s9, s8
	s_mul_i32 s9, s1, s4
	s_add_i32 s9, s8, s9
	s_mul_i32 s8, s0, s4
	v_lshl_add_u32 v10, v6, 3, 0
	s_lshl_b64 s[8:9], s[8:9], 3
	v_mad_u64_u32 v[6:7], s[10:11], s18, v0, 0
	s_lshl_b64 s[2:3], s[2:3], 3
	v_mov_b32_e32 v8, v7
	s_add_u32 s2, s6, s2
	v_mad_u64_u32 v[8:9], s[10:11], s19, v0, v[8:9]
	s_addc_u32 s3, s7, s3
	v_mov_b32_e32 v7, v8
	s_add_u32 s2, s2, s8
	v_lshlrev_b64 v[6:7], 3, v[6:7]
	s_addc_u32 s3, s3, s9
	s_lshl_b64 s[0:1], s[0:1], 3
	v_add_co_u32_e32 v6, vcc, s2, v6
	s_sub_u32 s2, 0, s0
	v_mov_b32_e32 v8, s3
	s_subb_u32 s0, 0, s1
	v_addc_co_u32_e32 v7, vcc, v8, v7, vcc
	v_mov_b32_e32 v11, s0
.LBB30_3:                               ; =>This Inner Loop Header: Depth=1
	v_cmp_eq_u64_e32 vcc, s[4:5], v[0:1]
	s_barrier
	s_and_saveexec_b64 s[0:1], vcc
	s_cbranch_execz .LBB30_5
; %bb.4:                                ;   in Loop: Header=BB30_3 Depth=1
	s_waitcnt vmcnt(0)
	ds_write_b64 v10, v[4:5]
.LBB30_5:                               ;   in Loop: Header=BB30_3 Depth=1
	s_or_b64 exec, exec, s[0:1]
	v_cmp_gt_i64_e32 vcc, s[4:5], v[0:1]
	v_mov_b32_e32 v8, 0
	v_mov_b32_e32 v9, 0
	s_waitcnt lgkmcnt(0)
	s_barrier
	s_and_saveexec_b64 s[0:1], vcc
	s_cbranch_execz .LBB30_7
; %bb.6:                                ;   in Loop: Header=BB30_3 Depth=1
	global_load_dwordx2 v[8:9], v[6:7], off
	ds_read_b64 v[12:13], v10
	s_waitcnt vmcnt(0) lgkmcnt(0)
	v_pk_mul_f32 v[14:15], v[12:13], v[8:9] op_sel:[0,1]
	v_pk_mul_f32 v[16:17], v[12:13], v[8:9] op_sel_hi:[1,0]
	v_pk_fma_f32 v[8:9], v[12:13], v[8:9], v[14:15] op_sel:[0,0,1] op_sel_hi:[1,0,0]
	v_sub_f32_e32 v8, v16, v15
.LBB30_7:                               ;   in Loop: Header=BB30_3 Depth=1
	s_or_b64 exec, exec, s[0:1]
	s_add_u32 s0, s4, -1
	s_addc_u32 s1, s5, -1
	s_add_u32 s4, s4, 1
	s_addc_u32 s5, s5, 0
	v_add_co_u32_e32 v6, vcc, s2, v6
	v_addc_co_u32_e32 v7, vcc, v7, v11, vcc
	v_cmp_lt_u64_e64 s[4:5], s[4:5], 3
	s_waitcnt vmcnt(0)
	v_pk_add_f32 v[4:5], v[4:5], v[8:9] neg_lo:[0,1] neg_hi:[0,1]
	s_and_b64 vcc, exec, s[4:5]
	s_cbranch_vccnz .LBB30_9
; %bb.8:                                ;   in Loop: Header=BB30_3 Depth=1
	s_mov_b64 s[4:5], s[0:1]
	s_branch .LBB30_3
.LBB30_9:
	s_waitcnt vmcnt(0)
	global_store_dwordx2 v[2:3], v[4:5], off
.LBB30_10:
	s_endpgm
	.section	.rodata,"a",@progbits
	.p2align	6, 0x0
	.amdhsa_kernel _ZN9rocsolver6v33100L33unit_backward_substitution_kernelI19rocblas_complex_numIfElPKPS3_EEvT0_S7_T1_S7_S7_llS8_S7_S7_ll
		.amdhsa_group_segment_fixed_size 0
		.amdhsa_private_segment_fixed_size 0
		.amdhsa_kernarg_size 352
		.amdhsa_user_sgpr_count 6
		.amdhsa_user_sgpr_private_segment_buffer 1
		.amdhsa_user_sgpr_dispatch_ptr 0
		.amdhsa_user_sgpr_queue_ptr 0
		.amdhsa_user_sgpr_kernarg_segment_ptr 1
		.amdhsa_user_sgpr_dispatch_id 0
		.amdhsa_user_sgpr_flat_scratch_init 0
		.amdhsa_user_sgpr_kernarg_preload_length 0
		.amdhsa_user_sgpr_kernarg_preload_offset 0
		.amdhsa_user_sgpr_private_segment_size 0
		.amdhsa_uses_dynamic_stack 0
		.amdhsa_system_sgpr_private_segment_wavefront_offset 0
		.amdhsa_system_sgpr_workgroup_id_x 1
		.amdhsa_system_sgpr_workgroup_id_y 1
		.amdhsa_system_sgpr_workgroup_id_z 1
		.amdhsa_system_sgpr_workgroup_info 0
		.amdhsa_system_vgpr_workitem_id 1
		.amdhsa_next_free_vgpr 18
		.amdhsa_next_free_sgpr 28
		.amdhsa_accum_offset 20
		.amdhsa_reserve_vcc 1
		.amdhsa_reserve_flat_scratch 0
		.amdhsa_float_round_mode_32 0
		.amdhsa_float_round_mode_16_64 0
		.amdhsa_float_denorm_mode_32 3
		.amdhsa_float_denorm_mode_16_64 3
		.amdhsa_dx10_clamp 1
		.amdhsa_ieee_mode 1
		.amdhsa_fp16_overflow 0
		.amdhsa_tg_split 0
		.amdhsa_exception_fp_ieee_invalid_op 0
		.amdhsa_exception_fp_denorm_src 0
		.amdhsa_exception_fp_ieee_div_zero 0
		.amdhsa_exception_fp_ieee_overflow 0
		.amdhsa_exception_fp_ieee_underflow 0
		.amdhsa_exception_fp_ieee_inexact 0
		.amdhsa_exception_int_div_zero 0
	.end_amdhsa_kernel
	.section	.text._ZN9rocsolver6v33100L33unit_backward_substitution_kernelI19rocblas_complex_numIfElPKPS3_EEvT0_S7_T1_S7_S7_llS8_S7_S7_ll,"axG",@progbits,_ZN9rocsolver6v33100L33unit_backward_substitution_kernelI19rocblas_complex_numIfElPKPS3_EEvT0_S7_T1_S7_S7_llS8_S7_S7_ll,comdat
.Lfunc_end30:
	.size	_ZN9rocsolver6v33100L33unit_backward_substitution_kernelI19rocblas_complex_numIfElPKPS3_EEvT0_S7_T1_S7_S7_llS8_S7_S7_ll, .Lfunc_end30-_ZN9rocsolver6v33100L33unit_backward_substitution_kernelI19rocblas_complex_numIfElPKPS3_EEvT0_S7_T1_S7_S7_llS8_S7_S7_ll
                                        ; -- End function
	.section	.AMDGPU.csdata,"",@progbits
; Kernel info:
; codeLenInByte = 580
; NumSgprs: 32
; NumVgprs: 18
; NumAgprs: 0
; TotalNumVgprs: 18
; ScratchSize: 0
; MemoryBound: 0
; FloatMode: 240
; IeeeMode: 1
; LDSByteSize: 0 bytes/workgroup (compile time only)
; SGPRBlocks: 3
; VGPRBlocks: 2
; NumSGPRsForWavesPerEU: 32
; NumVGPRsForWavesPerEU: 18
; AccumOffset: 20
; Occupancy: 8
; WaveLimiterHint : 1
; COMPUTE_PGM_RSRC2:SCRATCH_EN: 0
; COMPUTE_PGM_RSRC2:USER_SGPR: 6
; COMPUTE_PGM_RSRC2:TRAP_HANDLER: 0
; COMPUTE_PGM_RSRC2:TGID_X_EN: 1
; COMPUTE_PGM_RSRC2:TGID_Y_EN: 1
; COMPUTE_PGM_RSRC2:TGID_Z_EN: 1
; COMPUTE_PGM_RSRC2:TIDIG_COMP_CNT: 1
; COMPUTE_PGM_RSRC3_GFX90A:ACCUM_OFFSET: 4
; COMPUTE_PGM_RSRC3_GFX90A:TG_SPLIT: 0
	.section	.text._ZN9rocsolver6v33100L36nonunit_backward_substitution_kernelI19rocblas_complex_numIfElPKPS3_EEvT0_S7_T1_S7_S7_llS8_S7_S7_ll,"axG",@progbits,_ZN9rocsolver6v33100L36nonunit_backward_substitution_kernelI19rocblas_complex_numIfElPKPS3_EEvT0_S7_T1_S7_S7_llS8_S7_S7_ll,comdat
	.globl	_ZN9rocsolver6v33100L36nonunit_backward_substitution_kernelI19rocblas_complex_numIfElPKPS3_EEvT0_S7_T1_S7_S7_llS8_S7_S7_ll ; -- Begin function _ZN9rocsolver6v33100L36nonunit_backward_substitution_kernelI19rocblas_complex_numIfElPKPS3_EEvT0_S7_T1_S7_S7_llS8_S7_S7_ll
	.p2align	8
	.type	_ZN9rocsolver6v33100L36nonunit_backward_substitution_kernelI19rocblas_complex_numIfElPKPS3_EEvT0_S7_T1_S7_S7_llS8_S7_S7_ll,@function
_ZN9rocsolver6v33100L36nonunit_backward_substitution_kernelI19rocblas_complex_numIfElPKPS3_EEvT0_S7_T1_S7_S7_llS8_S7_S7_ll: ; @_ZN9rocsolver6v33100L36nonunit_backward_substitution_kernelI19rocblas_complex_numIfElPKPS3_EEvT0_S7_T1_S7_S7_llS8_S7_S7_ll
; %bb.0:
	s_load_dword s0, s[4:5], 0x6c
	s_load_dwordx8 s[12:19], s[4:5], 0x0
	v_mov_b32_e32 v5, 0
	v_bfe_u32 v8, v0, 10, 10
	v_mov_b32_e32 v9, v5
	s_waitcnt lgkmcnt(0)
	s_lshr_b32 s0, s0, 16
	v_mov_b32_e32 v1, s7
	v_mad_u64_u32 v[2:3], s[0:1], s0, v1, v[8:9]
	v_cmp_gt_i64_e32 vcc, s[14:15], v[2:3]
	s_and_saveexec_b64 s[0:1], vcc
	s_cbranch_execz .LBB31_20
; %bb.1:
	s_mov_b32 s9, 0
	s_lshl_b64 s[10:11], s[8:9], 3
	s_load_dwordx4 s[0:3], s[4:5], 0x20
	s_add_u32 s8, s16, s10
	s_addc_u32 s9, s17, s11
	s_load_dwordx2 s[6:7], s[8:9], 0x0
	s_load_dwordx8 s[20:27], s[4:5], 0x38
	v_and_b32_e32 v4, 0x3ff, v0
	s_waitcnt lgkmcnt(0)
	s_lshl_b64 s[8:9], s[2:3], 3
	s_add_u32 s2, s6, s8
	s_addc_u32 s3, s7, s9
	s_add_u32 s4, s20, s10
	s_addc_u32 s5, s21, s11
	s_load_dwordx2 s[4:5], s[4:5], 0x0
	v_mad_u64_u32 v[0:1], s[10:11], v4, s22, 0
	s_lshl_b64 s[10:11], s[26:27], 3
	v_mov_b32_e32 v6, v1
	s_waitcnt lgkmcnt(0)
	s_add_u32 s10, s4, s10
	s_addc_u32 s11, s5, s11
	v_mad_u64_u32 v[6:7], s[4:5], v4, s23, v[6:7]
	v_mov_b32_e32 v1, v6
	v_mul_lo_u32 v6, v3, s24
	v_mul_lo_u32 v7, v2, s25
	v_mad_u64_u32 v[2:3], s[4:5], v2, s24, 0
	v_lshlrev_b64 v[0:1], 3, v[0:1]
	v_add3_u32 v3, v3, v7, v6
	v_mov_b32_e32 v6, s11
	v_add_co_u32_e32 v7, vcc, s10, v0
	v_addc_co_u32_e32 v6, vcc, v6, v1, vcc
	v_lshlrev_b64 v[0:1], 3, v[2:3]
	v_add_co_u32_e32 v0, vcc, v7, v0
	v_addc_co_u32_e32 v1, vcc, v6, v1, vcc
	global_load_dwordx2 v[2:3], v[0:1], off
	v_cmp_lt_i64_e64 s[4:5], s[12:13], 2
	s_and_b64 vcc, exec, s[4:5]
	s_cbranch_vccnz .LBB31_13
; %bb.2:
	s_add_u32 s4, s0, s18
	v_mad_u64_u32 v[6:7], s[4:5], s4, v4, 0
	s_addc_u32 s10, s1, s19
	v_mov_b32_e32 v10, v7
	v_mad_u64_u32 v[10:11], s[4:5], s10, v4, v[10:11]
	s_add_u32 s4, s12, -1
	s_addc_u32 s5, s13, -1
	v_mov_b32_e32 v7, v10
	s_mul_i32 s10, s0, s5
	s_mul_hi_u32 s11, s0, s4
	v_lshlrev_b64 v[6:7], 3, v[6:7]
	s_add_i32 s10, s11, s10
	s_mul_i32 s11, s1, s4
	v_mov_b32_e32 v9, s3
	v_add_co_u32_e32 v6, vcc, s2, v6
	s_add_i32 s11, s10, s11
	s_mul_i32 s10, s0, s4
	v_addc_co_u32_e32 v7, vcc, v9, v7, vcc
	v_lshl_add_u32 v12, v8, 3, 0
	s_lshl_b64 s[10:11], s[10:11], 3
	v_mad_u64_u32 v[8:9], s[12:13], s18, v4, 0
	v_mov_b32_e32 v10, v9
	s_add_u32 s6, s6, s8
	v_mad_u64_u32 v[10:11], s[12:13], s19, v4, v[10:11]
	s_addc_u32 s7, s7, s9
	v_mov_b32_e32 v9, v10
	s_add_u32 s6, s6, s10
	v_lshlrev_b64 v[8:9], 3, v[8:9]
	s_addc_u32 s7, s7, s11
	s_lshl_b64 s[0:1], s[0:1], 3
	v_mov_b32_e32 v10, s7
	v_add_co_u32_e32 v8, vcc, s6, v8
	s_sub_u32 s8, 0, s0
	v_addc_co_u32_e32 v9, vcc, v10, v9, vcc
	s_subb_u32 s9, 0, s1
.LBB31_3:                               ; =>This Inner Loop Header: Depth=1
	v_cmp_eq_u64_e32 vcc, s[4:5], v[4:5]
	s_barrier
	s_and_saveexec_b64 s[0:1], vcc
	s_cbranch_execz .LBB31_9
; %bb.4:                                ;   in Loop: Header=BB31_3 Depth=1
	global_load_dwordx2 v[10:11], v[6:7], off
	s_waitcnt vmcnt(0)
	v_cmp_gt_f32_e32 vcc, 0, v11
	v_cndmask_b32_e64 v13, v11, -v11, vcc
	v_cmp_gt_f32_e32 vcc, 0, v10
	v_cndmask_b32_e64 v14, v10, -v10, vcc
	v_cmp_ngt_f32_e32 vcc, v14, v13
	s_and_saveexec_b64 s[6:7], vcc
	s_xor_b64 s[6:7], exec, s[6:7]
	s_cbranch_execz .LBB31_6
; %bb.5:                                ;   in Loop: Header=BB31_3 Depth=1
	v_div_scale_f32 v13, s[10:11], v11, v11, v10
	v_rcp_f32_e32 v14, v13
	v_div_scale_f32 v15, vcc, v10, v11, v10
	v_fma_f32 v16, -v13, v14, 1.0
	v_fmac_f32_e32 v14, v16, v14
	v_mul_f32_e32 v16, v15, v14
	v_fma_f32 v17, -v13, v16, v15
	v_fmac_f32_e32 v16, v17, v14
	v_fma_f32 v13, -v13, v16, v15
	v_div_fmas_f32 v13, v13, v14, v16
	v_div_fixup_f32 v14, v13, v11, v10
	v_fmac_f32_e32 v11, v10, v14
	v_div_scale_f32 v10, s[10:11], v11, v11, 1.0
	v_rcp_f32_e32 v13, v10
	v_fma_f32 v15, -v10, v13, 1.0
	v_fmac_f32_e32 v13, v15, v13
	v_div_scale_f32 v15, vcc, 1.0, v11, 1.0
	v_mul_f32_e32 v16, v15, v13
	v_fma_f32 v17, -v10, v16, v15
	v_fmac_f32_e32 v16, v17, v13
	v_fma_f32 v10, -v10, v16, v15
	v_div_fmas_f32 v10, v10, v13, v16
	v_pk_fma_f32 v[16:17], v[2:3], v[14:15], v[2:3] op_sel:[0,0,1] op_sel_hi:[1,0,0] neg_lo:[0,0,1] neg_hi:[0,0,1]
	v_pk_fma_f32 v[2:3], v[2:3], v[14:15], v[2:3] op_sel:[0,0,1] op_sel_hi:[1,0,0]
	v_div_fixup_f32 v10, v10, v11, 1.0
	v_mov_b32_e32 v3, v17
	v_pk_mul_f32 v[2:3], v[2:3], v[10:11] op_sel_hi:[1,0]
                                        ; implicit-def: $vgpr10_vgpr11
.LBB31_6:                               ;   in Loop: Header=BB31_3 Depth=1
	s_andn2_saveexec_b64 s[6:7], s[6:7]
	s_cbranch_execz .LBB31_8
; %bb.7:                                ;   in Loop: Header=BB31_3 Depth=1
	v_div_scale_f32 v13, s[10:11], v10, v10, v11
	v_rcp_f32_e32 v14, v13
	v_div_scale_f32 v15, vcc, v11, v10, v11
	v_fma_f32 v16, -v13, v14, 1.0
	v_fmac_f32_e32 v14, v16, v14
	v_mul_f32_e32 v16, v15, v14
	v_fma_f32 v17, -v13, v16, v15
	v_fmac_f32_e32 v16, v17, v14
	v_fma_f32 v13, -v13, v16, v15
	v_div_fmas_f32 v13, v13, v14, v16
	v_div_fixup_f32 v14, v13, v10, v11
	v_fmac_f32_e32 v10, v11, v14
	v_div_scale_f32 v11, s[10:11], v10, v10, 1.0
	v_rcp_f32_e32 v13, v11
	v_fma_f32 v15, -v11, v13, 1.0
	v_fmac_f32_e32 v13, v15, v13
	v_div_scale_f32 v15, vcc, 1.0, v10, 1.0
	v_mul_f32_e32 v16, v15, v13
	v_fma_f32 v17, -v11, v16, v15
	v_fmac_f32_e32 v16, v17, v13
	v_fma_f32 v11, -v11, v16, v15
	v_pk_mul_f32 v[14:15], v[2:3], v[14:15] op_sel_hi:[1,0]
	v_div_fmas_f32 v11, v11, v13, v16
	v_pk_add_f32 v[16:17], v[2:3], v[14:15] op_sel:[0,1] op_sel_hi:[1,0] neg_lo:[0,1] neg_hi:[0,1]
	v_pk_add_f32 v[2:3], v[2:3], v[14:15] op_sel:[0,1] op_sel_hi:[1,0]
	v_div_fixup_f32 v10, v11, v10, 1.0
	v_mov_b32_e32 v3, v17
	v_pk_mul_f32 v[2:3], v[2:3], v[10:11] op_sel_hi:[1,0]
.LBB31_8:                               ;   in Loop: Header=BB31_3 Depth=1
	s_or_b64 exec, exec, s[6:7]
	ds_write_b64 v12, v[2:3]
.LBB31_9:                               ;   in Loop: Header=BB31_3 Depth=1
	s_or_b64 exec, exec, s[0:1]
	v_mov_b32_e32 v10, 0
	v_cmp_gt_i64_e32 vcc, s[4:5], v[4:5]
	v_mov_b32_e32 v11, v10
	s_waitcnt lgkmcnt(0)
	s_barrier
	s_and_saveexec_b64 s[0:1], vcc
	s_cbranch_execz .LBB31_11
; %bb.10:                               ;   in Loop: Header=BB31_3 Depth=1
	global_load_dwordx2 v[10:11], v[8:9], off
	ds_read_b64 v[14:15], v12
	s_waitcnt vmcnt(0) lgkmcnt(0)
	v_pk_mul_f32 v[16:17], v[14:15], v[10:11] op_sel:[0,1]
	v_pk_mul_f32 v[18:19], v[14:15], v[10:11] op_sel_hi:[1,0]
	v_pk_fma_f32 v[10:11], v[14:15], v[10:11], v[16:17] op_sel:[0,0,1] op_sel_hi:[1,0,0]
	v_sub_f32_e32 v10, v18, v17
.LBB31_11:                              ;   in Loop: Header=BB31_3 Depth=1
	s_or_b64 exec, exec, s[0:1]
	s_add_u32 s0, s4, -1
	s_addc_u32 s1, s5, -1
	s_add_u32 s4, s4, 1
	s_waitcnt vmcnt(0)
	v_pk_add_f32 v[2:3], v[2:3], v[10:11] neg_lo:[0,1] neg_hi:[0,1]
	s_addc_u32 s5, s5, 0
	v_mov_b32_e32 v10, s9
	v_add_co_u32_e32 v8, vcc, s8, v8
	v_addc_co_u32_e32 v9, vcc, v9, v10, vcc
	v_cmp_lt_u64_e64 s[4:5], s[4:5], 3
	s_and_b64 vcc, exec, s[4:5]
	s_cbranch_vccnz .LBB31_13
; %bb.12:                               ;   in Loop: Header=BB31_3 Depth=1
	s_mov_b64 s[4:5], s[0:1]
	s_branch .LBB31_3
.LBB31_13:
	v_cmp_eq_u32_e32 vcc, 0, v4
	s_and_saveexec_b64 s[0:1], vcc
	s_cbranch_execz .LBB31_19
; %bb.14:
	s_load_dwordx2 s[2:3], s[2:3], 0x0
	s_waitcnt lgkmcnt(0)
	v_mov_b32_e32 v4, s3
	v_cmp_lt_f32_e64 s[4:5], s3, 0
	v_mov_b32_e32 v5, s2
	v_cndmask_b32_e64 v4, v4, -v4, s[4:5]
	v_cmp_lt_f32_e64 s[4:5], s2, 0
	v_cndmask_b32_e64 v5, v5, -v5, s[4:5]
	v_cmp_ngt_f32_e32 vcc, v5, v4
	s_cbranch_vccz .LBB31_16
; %bb.15:
	v_mov_b32_e32 v4, s2
	v_div_scale_f32 v5, s[4:5], s3, s3, v4
	v_rcp_f32_e32 v6, v5
	v_mov_b32_e32 v7, s3
	v_fma_f32 v8, -v5, v6, 1.0
	v_fmac_f32_e32 v6, v8, v6
	v_div_scale_f32 v8, vcc, s2, v7, s2
	v_mul_f32_e32 v9, v8, v6
	v_fma_f32 v10, -v5, v9, v8
	v_fmac_f32_e32 v9, v10, v6
	v_fma_f32 v5, -v5, v9, v8
	v_div_fmas_f32 v5, v5, v6, v9
	v_div_fixup_f32 v5, v5, s3, v4
	v_fma_f32 v4, s2, v5, v7
	v_div_scale_f32 v6, s[4:5], v4, v4, 1.0
	v_rcp_f32_e32 v7, v6
	v_fma_f32 v8, -v6, v7, 1.0
	v_fmac_f32_e32 v7, v8, v7
	v_div_scale_f32 v8, vcc, 1.0, v4, 1.0
	v_mul_f32_e32 v9, v8, v7
	v_fma_f32 v10, -v6, v9, v8
	v_fmac_f32_e32 v9, v10, v7
	v_fma_f32 v6, -v6, v9, v8
	v_div_fmas_f32 v6, v6, v7, v9
	v_div_fixup_f32 v6, v6, v4, 1.0
	s_waitcnt vmcnt(0)
	v_fma_f32 v4, v2, v5, v3
	v_fma_f32 v5, v3, v5, -v2
	v_mul_f32_e32 v4, v4, v6
	v_mul_f32_e32 v5, v5, v6
	s_cbranch_execz .LBB31_17
	s_branch .LBB31_18
.LBB31_16:
                                        ; implicit-def: $vgpr4
                                        ; implicit-def: $vgpr5
.LBB31_17:
	v_mov_b32_e32 v4, s3
	v_div_scale_f32 v5, s[4:5], s2, s2, v4
	v_rcp_f32_e32 v6, v5
	v_mov_b32_e32 v7, s2
	v_fma_f32 v8, -v5, v6, 1.0
	v_fmac_f32_e32 v6, v8, v6
	v_div_scale_f32 v8, vcc, s3, v7, s3
	v_mul_f32_e32 v9, v8, v6
	v_fma_f32 v10, -v5, v9, v8
	v_fmac_f32_e32 v9, v10, v6
	v_fma_f32 v5, -v5, v9, v8
	v_div_fmas_f32 v5, v5, v6, v9
	v_div_fixup_f32 v5, v5, s2, v4
	v_fma_f32 v4, s3, v5, v7
	v_div_scale_f32 v6, s[2:3], v4, v4, 1.0
	v_rcp_f32_e32 v7, v6
	v_fma_f32 v8, -v6, v7, 1.0
	v_fmac_f32_e32 v7, v8, v7
	v_div_scale_f32 v8, vcc, 1.0, v4, 1.0
	v_mul_f32_e32 v9, v8, v7
	v_fma_f32 v10, -v6, v9, v8
	v_fmac_f32_e32 v9, v10, v7
	v_fma_f32 v6, -v6, v9, v8
	v_div_fmas_f32 v6, v6, v7, v9
	v_div_fixup_f32 v6, v6, v4, 1.0
	s_waitcnt vmcnt(0)
	v_fma_f32 v4, v3, v5, v2
	v_fma_f32 v2, -v2, v5, v3
	v_mul_f32_e32 v4, v4, v6
	v_mul_f32_e32 v5, v2, v6
.LBB31_18:
	s_waitcnt vmcnt(0)
	v_mov_b32_e32 v3, v5
	v_mov_b32_e32 v2, v4
.LBB31_19:
	s_or_b64 exec, exec, s[0:1]
	s_waitcnt vmcnt(0)
	global_store_dwordx2 v[0:1], v[2:3], off
.LBB31_20:
	s_endpgm
	.section	.rodata,"a",@progbits
	.p2align	6, 0x0
	.amdhsa_kernel _ZN9rocsolver6v33100L36nonunit_backward_substitution_kernelI19rocblas_complex_numIfElPKPS3_EEvT0_S7_T1_S7_S7_llS8_S7_S7_ll
		.amdhsa_group_segment_fixed_size 0
		.amdhsa_private_segment_fixed_size 0
		.amdhsa_kernarg_size 352
		.amdhsa_user_sgpr_count 6
		.amdhsa_user_sgpr_private_segment_buffer 1
		.amdhsa_user_sgpr_dispatch_ptr 0
		.amdhsa_user_sgpr_queue_ptr 0
		.amdhsa_user_sgpr_kernarg_segment_ptr 1
		.amdhsa_user_sgpr_dispatch_id 0
		.amdhsa_user_sgpr_flat_scratch_init 0
		.amdhsa_user_sgpr_kernarg_preload_length 0
		.amdhsa_user_sgpr_kernarg_preload_offset 0
		.amdhsa_user_sgpr_private_segment_size 0
		.amdhsa_uses_dynamic_stack 0
		.amdhsa_system_sgpr_private_segment_wavefront_offset 0
		.amdhsa_system_sgpr_workgroup_id_x 1
		.amdhsa_system_sgpr_workgroup_id_y 1
		.amdhsa_system_sgpr_workgroup_id_z 1
		.amdhsa_system_sgpr_workgroup_info 0
		.amdhsa_system_vgpr_workitem_id 1
		.amdhsa_next_free_vgpr 20
		.amdhsa_next_free_sgpr 28
		.amdhsa_accum_offset 20
		.amdhsa_reserve_vcc 1
		.amdhsa_reserve_flat_scratch 0
		.amdhsa_float_round_mode_32 0
		.amdhsa_float_round_mode_16_64 0
		.amdhsa_float_denorm_mode_32 3
		.amdhsa_float_denorm_mode_16_64 3
		.amdhsa_dx10_clamp 1
		.amdhsa_ieee_mode 1
		.amdhsa_fp16_overflow 0
		.amdhsa_tg_split 0
		.amdhsa_exception_fp_ieee_invalid_op 0
		.amdhsa_exception_fp_denorm_src 0
		.amdhsa_exception_fp_ieee_div_zero 0
		.amdhsa_exception_fp_ieee_overflow 0
		.amdhsa_exception_fp_ieee_underflow 0
		.amdhsa_exception_fp_ieee_inexact 0
		.amdhsa_exception_int_div_zero 0
	.end_amdhsa_kernel
	.section	.text._ZN9rocsolver6v33100L36nonunit_backward_substitution_kernelI19rocblas_complex_numIfElPKPS3_EEvT0_S7_T1_S7_S7_llS8_S7_S7_ll,"axG",@progbits,_ZN9rocsolver6v33100L36nonunit_backward_substitution_kernelI19rocblas_complex_numIfElPKPS3_EEvT0_S7_T1_S7_S7_llS8_S7_S7_ll,comdat
.Lfunc_end31:
	.size	_ZN9rocsolver6v33100L36nonunit_backward_substitution_kernelI19rocblas_complex_numIfElPKPS3_EEvT0_S7_T1_S7_S7_llS8_S7_S7_ll, .Lfunc_end31-_ZN9rocsolver6v33100L36nonunit_backward_substitution_kernelI19rocblas_complex_numIfElPKPS3_EEvT0_S7_T1_S7_S7_llS8_S7_S7_ll
                                        ; -- End function
	.section	.AMDGPU.csdata,"",@progbits
; Kernel info:
; codeLenInByte = 1528
; NumSgprs: 32
; NumVgprs: 20
; NumAgprs: 0
; TotalNumVgprs: 20
; ScratchSize: 0
; MemoryBound: 0
; FloatMode: 240
; IeeeMode: 1
; LDSByteSize: 0 bytes/workgroup (compile time only)
; SGPRBlocks: 3
; VGPRBlocks: 2
; NumSGPRsForWavesPerEU: 32
; NumVGPRsForWavesPerEU: 20
; AccumOffset: 20
; Occupancy: 8
; WaveLimiterHint : 1
; COMPUTE_PGM_RSRC2:SCRATCH_EN: 0
; COMPUTE_PGM_RSRC2:USER_SGPR: 6
; COMPUTE_PGM_RSRC2:TRAP_HANDLER: 0
; COMPUTE_PGM_RSRC2:TGID_X_EN: 1
; COMPUTE_PGM_RSRC2:TGID_Y_EN: 1
; COMPUTE_PGM_RSRC2:TGID_Z_EN: 1
; COMPUTE_PGM_RSRC2:TIDIG_COMP_CNT: 1
; COMPUTE_PGM_RSRC3_GFX90A:ACCUM_OFFSET: 4
; COMPUTE_PGM_RSRC3_GFX90A:TG_SPLIT: 0
	.text
	.p2alignl 6, 3212836864
	.fill 256, 4, 3212836864
	.type	__hip_cuid_3f783ebd82ee788f,@object ; @__hip_cuid_3f783ebd82ee788f
	.section	.bss,"aw",@nobits
	.globl	__hip_cuid_3f783ebd82ee788f
__hip_cuid_3f783ebd82ee788f:
	.byte	0                               ; 0x0
	.size	__hip_cuid_3f783ebd82ee788f, 1

	.ident	"AMD clang version 19.0.0git (https://github.com/RadeonOpenCompute/llvm-project roc-6.4.0 25133 c7fe45cf4b819c5991fe208aaa96edf142730f1d)"
	.section	".note.GNU-stack","",@progbits
	.addrsig
	.addrsig_sym __hip_cuid_3f783ebd82ee788f
	.amdgpu_metadata
---
amdhsa.kernels:
  - .agpr_count:     0
    .args:
      - .offset:         0
        .size:           4
        .value_kind:     by_value
      - .offset:         4
        .size:           4
        .value_kind:     by_value
      - .address_space:  global
        .offset:         8
        .size:           8
        .value_kind:     global_buffer
      - .offset:         16
        .size:           4
        .value_kind:     by_value
      - .offset:         20
        .size:           4
        .value_kind:     by_value
      - .offset:         24
        .size:           8
        .value_kind:     by_value
      - .offset:         32
        .size:           8
        .value_kind:     by_value
      - .address_space:  global
        .offset:         40
        .size:           8
        .value_kind:     global_buffer
      - .offset:         48
        .size:           4
        .value_kind:     by_value
      - .offset:         52
        .size:           4
        .value_kind:     by_value
      - .offset:         56
        .size:           8
        .value_kind:     by_value
      - .offset:         64
        .size:           8
        .value_kind:     by_value
      - .offset:         72
        .size:           4
        .value_kind:     hidden_block_count_x
      - .offset:         76
        .size:           4
        .value_kind:     hidden_block_count_y
      - .offset:         80
        .size:           4
        .value_kind:     hidden_block_count_z
      - .offset:         84
        .size:           2
        .value_kind:     hidden_group_size_x
      - .offset:         86
        .size:           2
        .value_kind:     hidden_group_size_y
      - .offset:         88
        .size:           2
        .value_kind:     hidden_group_size_z
      - .offset:         90
        .size:           2
        .value_kind:     hidden_remainder_x
      - .offset:         92
        .size:           2
        .value_kind:     hidden_remainder_y
      - .offset:         94
        .size:           2
        .value_kind:     hidden_remainder_z
      - .offset:         112
        .size:           8
        .value_kind:     hidden_global_offset_x
      - .offset:         120
        .size:           8
        .value_kind:     hidden_global_offset_y
      - .offset:         128
        .size:           8
        .value_kind:     hidden_global_offset_z
      - .offset:         136
        .size:           2
        .value_kind:     hidden_grid_dims
      - .offset:         192
        .size:           4
        .value_kind:     hidden_dynamic_lds_size
    .group_segment_fixed_size: 0
    .kernarg_segment_align: 8
    .kernarg_segment_size: 328
    .language:       OpenCL C
    .language_version:
      - 2
      - 0
    .max_flat_workgroup_size: 1024
    .name:           _ZN9rocsolver6v33100L37conj_unit_forward_substitution_kernelI19rocblas_complex_numIfEiPS3_EEvT0_S5_T1_S5_S5_llS6_S5_S5_ll
    .private_segment_fixed_size: 0
    .sgpr_count:     24
    .sgpr_spill_count: 0
    .symbol:         _ZN9rocsolver6v33100L37conj_unit_forward_substitution_kernelI19rocblas_complex_numIfEiPS3_EEvT0_S5_T1_S5_S5_llS6_S5_S5_ll.kd
    .uniform_work_group_size: 1
    .uses_dynamic_stack: false
    .vgpr_count:     16
    .vgpr_spill_count: 0
    .wavefront_size: 64
  - .agpr_count:     0
    .args:
      - .offset:         0
        .size:           4
        .value_kind:     by_value
      - .offset:         4
        .size:           4
        .value_kind:     by_value
      - .address_space:  global
        .offset:         8
        .size:           8
        .value_kind:     global_buffer
      - .offset:         16
        .size:           4
        .value_kind:     by_value
      - .offset:         20
        .size:           4
        .value_kind:     by_value
      - .offset:         24
        .size:           8
        .value_kind:     by_value
      - .offset:         32
        .size:           8
        .value_kind:     by_value
      - .address_space:  global
        .offset:         40
        .size:           8
        .value_kind:     global_buffer
      - .offset:         48
        .size:           4
        .value_kind:     by_value
      - .offset:         52
        .size:           4
        .value_kind:     by_value
      - .offset:         56
        .size:           8
        .value_kind:     by_value
      - .offset:         64
        .size:           8
        .value_kind:     by_value
      - .offset:         72
        .size:           4
        .value_kind:     hidden_block_count_x
      - .offset:         76
        .size:           4
        .value_kind:     hidden_block_count_y
      - .offset:         80
        .size:           4
        .value_kind:     hidden_block_count_z
      - .offset:         84
        .size:           2
        .value_kind:     hidden_group_size_x
      - .offset:         86
        .size:           2
        .value_kind:     hidden_group_size_y
      - .offset:         88
        .size:           2
        .value_kind:     hidden_group_size_z
      - .offset:         90
        .size:           2
        .value_kind:     hidden_remainder_x
      - .offset:         92
        .size:           2
        .value_kind:     hidden_remainder_y
      - .offset:         94
        .size:           2
        .value_kind:     hidden_remainder_z
      - .offset:         112
        .size:           8
        .value_kind:     hidden_global_offset_x
      - .offset:         120
        .size:           8
        .value_kind:     hidden_global_offset_y
      - .offset:         128
        .size:           8
        .value_kind:     hidden_global_offset_z
      - .offset:         136
        .size:           2
        .value_kind:     hidden_grid_dims
      - .offset:         192
        .size:           4
        .value_kind:     hidden_dynamic_lds_size
    .group_segment_fixed_size: 0
    .kernarg_segment_align: 8
    .kernarg_segment_size: 328
    .language:       OpenCL C
    .language_version:
      - 2
      - 0
    .max_flat_workgroup_size: 1024
    .name:           _ZN9rocsolver6v33100L40conj_nonunit_forward_substitution_kernelI19rocblas_complex_numIfEiPS3_EEvT0_S5_T1_S5_S5_llS6_S5_S5_ll
    .private_segment_fixed_size: 0
    .sgpr_count:     32
    .sgpr_spill_count: 0
    .symbol:         _ZN9rocsolver6v33100L40conj_nonunit_forward_substitution_kernelI19rocblas_complex_numIfEiPS3_EEvT0_S5_T1_S5_S5_llS6_S5_S5_ll.kd
    .uniform_work_group_size: 1
    .uses_dynamic_stack: false
    .vgpr_count:     18
    .vgpr_spill_count: 0
    .wavefront_size: 64
  - .agpr_count:     0
    .args:
      - .offset:         0
        .size:           4
        .value_kind:     by_value
      - .offset:         4
        .size:           4
        .value_kind:     by_value
      - .address_space:  global
        .offset:         8
        .size:           8
        .value_kind:     global_buffer
      - .offset:         16
        .size:           4
        .value_kind:     by_value
      - .offset:         20
        .size:           4
        .value_kind:     by_value
      - .offset:         24
        .size:           8
        .value_kind:     by_value
      - .offset:         32
        .size:           8
        .value_kind:     by_value
      - .address_space:  global
        .offset:         40
        .size:           8
        .value_kind:     global_buffer
      - .offset:         48
        .size:           4
        .value_kind:     by_value
      - .offset:         52
        .size:           4
        .value_kind:     by_value
      - .offset:         56
        .size:           8
        .value_kind:     by_value
      - .offset:         64
        .size:           8
        .value_kind:     by_value
      - .offset:         72
        .size:           4
        .value_kind:     hidden_block_count_x
      - .offset:         76
        .size:           4
        .value_kind:     hidden_block_count_y
      - .offset:         80
        .size:           4
        .value_kind:     hidden_block_count_z
      - .offset:         84
        .size:           2
        .value_kind:     hidden_group_size_x
      - .offset:         86
        .size:           2
        .value_kind:     hidden_group_size_y
      - .offset:         88
        .size:           2
        .value_kind:     hidden_group_size_z
      - .offset:         90
        .size:           2
        .value_kind:     hidden_remainder_x
      - .offset:         92
        .size:           2
        .value_kind:     hidden_remainder_y
      - .offset:         94
        .size:           2
        .value_kind:     hidden_remainder_z
      - .offset:         112
        .size:           8
        .value_kind:     hidden_global_offset_x
      - .offset:         120
        .size:           8
        .value_kind:     hidden_global_offset_y
      - .offset:         128
        .size:           8
        .value_kind:     hidden_global_offset_z
      - .offset:         136
        .size:           2
        .value_kind:     hidden_grid_dims
      - .offset:         192
        .size:           4
        .value_kind:     hidden_dynamic_lds_size
    .group_segment_fixed_size: 0
    .kernarg_segment_align: 8
    .kernarg_segment_size: 328
    .language:       OpenCL C
    .language_version:
      - 2
      - 0
    .max_flat_workgroup_size: 1024
    .name:           _ZN9rocsolver6v33100L32unit_forward_substitution_kernelI19rocblas_complex_numIfEiPS3_EEvT0_S5_T1_S5_S5_llS6_S5_S5_ll
    .private_segment_fixed_size: 0
    .sgpr_count:     24
    .sgpr_spill_count: 0
    .symbol:         _ZN9rocsolver6v33100L32unit_forward_substitution_kernelI19rocblas_complex_numIfEiPS3_EEvT0_S5_T1_S5_S5_llS6_S5_S5_ll.kd
    .uniform_work_group_size: 1
    .uses_dynamic_stack: false
    .vgpr_count:     16
    .vgpr_spill_count: 0
    .wavefront_size: 64
  - .agpr_count:     0
    .args:
      - .offset:         0
        .size:           4
        .value_kind:     by_value
      - .offset:         4
        .size:           4
        .value_kind:     by_value
      - .address_space:  global
        .offset:         8
        .size:           8
        .value_kind:     global_buffer
      - .offset:         16
        .size:           4
        .value_kind:     by_value
      - .offset:         20
        .size:           4
        .value_kind:     by_value
      - .offset:         24
        .size:           8
        .value_kind:     by_value
      - .offset:         32
        .size:           8
        .value_kind:     by_value
      - .address_space:  global
        .offset:         40
        .size:           8
        .value_kind:     global_buffer
      - .offset:         48
        .size:           4
        .value_kind:     by_value
      - .offset:         52
        .size:           4
        .value_kind:     by_value
      - .offset:         56
        .size:           8
        .value_kind:     by_value
      - .offset:         64
        .size:           8
        .value_kind:     by_value
      - .offset:         72
        .size:           4
        .value_kind:     hidden_block_count_x
      - .offset:         76
        .size:           4
        .value_kind:     hidden_block_count_y
      - .offset:         80
        .size:           4
        .value_kind:     hidden_block_count_z
      - .offset:         84
        .size:           2
        .value_kind:     hidden_group_size_x
      - .offset:         86
        .size:           2
        .value_kind:     hidden_group_size_y
      - .offset:         88
        .size:           2
        .value_kind:     hidden_group_size_z
      - .offset:         90
        .size:           2
        .value_kind:     hidden_remainder_x
      - .offset:         92
        .size:           2
        .value_kind:     hidden_remainder_y
      - .offset:         94
        .size:           2
        .value_kind:     hidden_remainder_z
      - .offset:         112
        .size:           8
        .value_kind:     hidden_global_offset_x
      - .offset:         120
        .size:           8
        .value_kind:     hidden_global_offset_y
      - .offset:         128
        .size:           8
        .value_kind:     hidden_global_offset_z
      - .offset:         136
        .size:           2
        .value_kind:     hidden_grid_dims
      - .offset:         192
        .size:           4
        .value_kind:     hidden_dynamic_lds_size
    .group_segment_fixed_size: 0
    .kernarg_segment_align: 8
    .kernarg_segment_size: 328
    .language:       OpenCL C
    .language_version:
      - 2
      - 0
    .max_flat_workgroup_size: 1024
    .name:           _ZN9rocsolver6v33100L35nonunit_forward_substitution_kernelI19rocblas_complex_numIfEiPS3_EEvT0_S5_T1_S5_S5_llS6_S5_S5_ll
    .private_segment_fixed_size: 0
    .sgpr_count:     32
    .sgpr_spill_count: 0
    .symbol:         _ZN9rocsolver6v33100L35nonunit_forward_substitution_kernelI19rocblas_complex_numIfEiPS3_EEvT0_S5_T1_S5_S5_llS6_S5_S5_ll.kd
    .uniform_work_group_size: 1
    .uses_dynamic_stack: false
    .vgpr_count:     18
    .vgpr_spill_count: 0
    .wavefront_size: 64
  - .agpr_count:     0
    .args:
      - .offset:         0
        .size:           4
        .value_kind:     by_value
      - .offset:         4
        .size:           4
        .value_kind:     by_value
      - .address_space:  global
        .offset:         8
        .size:           8
        .value_kind:     global_buffer
      - .offset:         16
        .size:           4
        .value_kind:     by_value
      - .offset:         20
        .size:           4
        .value_kind:     by_value
      - .offset:         24
        .size:           8
        .value_kind:     by_value
      - .offset:         32
        .size:           8
        .value_kind:     by_value
      - .address_space:  global
        .offset:         40
        .size:           8
        .value_kind:     global_buffer
      - .offset:         48
        .size:           4
        .value_kind:     by_value
      - .offset:         52
        .size:           4
        .value_kind:     by_value
      - .offset:         56
        .size:           8
        .value_kind:     by_value
      - .offset:         64
        .size:           8
        .value_kind:     by_value
      - .offset:         72
        .size:           4
        .value_kind:     hidden_block_count_x
      - .offset:         76
        .size:           4
        .value_kind:     hidden_block_count_y
      - .offset:         80
        .size:           4
        .value_kind:     hidden_block_count_z
      - .offset:         84
        .size:           2
        .value_kind:     hidden_group_size_x
      - .offset:         86
        .size:           2
        .value_kind:     hidden_group_size_y
      - .offset:         88
        .size:           2
        .value_kind:     hidden_group_size_z
      - .offset:         90
        .size:           2
        .value_kind:     hidden_remainder_x
      - .offset:         92
        .size:           2
        .value_kind:     hidden_remainder_y
      - .offset:         94
        .size:           2
        .value_kind:     hidden_remainder_z
      - .offset:         112
        .size:           8
        .value_kind:     hidden_global_offset_x
      - .offset:         120
        .size:           8
        .value_kind:     hidden_global_offset_y
      - .offset:         128
        .size:           8
        .value_kind:     hidden_global_offset_z
      - .offset:         136
        .size:           2
        .value_kind:     hidden_grid_dims
      - .offset:         192
        .size:           4
        .value_kind:     hidden_dynamic_lds_size
    .group_segment_fixed_size: 0
    .kernarg_segment_align: 8
    .kernarg_segment_size: 328
    .language:       OpenCL C
    .language_version:
      - 2
      - 0
    .max_flat_workgroup_size: 1024
    .name:           _ZN9rocsolver6v33100L38conj_unit_backward_substitution_kernelI19rocblas_complex_numIfEiPS3_EEvT0_S5_T1_S5_S5_llS6_S5_S5_ll
    .private_segment_fixed_size: 0
    .sgpr_count:     24
    .sgpr_spill_count: 0
    .symbol:         _ZN9rocsolver6v33100L38conj_unit_backward_substitution_kernelI19rocblas_complex_numIfEiPS3_EEvT0_S5_T1_S5_S5_llS6_S5_S5_ll.kd
    .uniform_work_group_size: 1
    .uses_dynamic_stack: false
    .vgpr_count:     16
    .vgpr_spill_count: 0
    .wavefront_size: 64
  - .agpr_count:     0
    .args:
      - .offset:         0
        .size:           4
        .value_kind:     by_value
      - .offset:         4
        .size:           4
        .value_kind:     by_value
      - .address_space:  global
        .offset:         8
        .size:           8
        .value_kind:     global_buffer
      - .offset:         16
        .size:           4
        .value_kind:     by_value
      - .offset:         20
        .size:           4
        .value_kind:     by_value
      - .offset:         24
        .size:           8
        .value_kind:     by_value
      - .offset:         32
        .size:           8
        .value_kind:     by_value
      - .address_space:  global
        .offset:         40
        .size:           8
        .value_kind:     global_buffer
      - .offset:         48
        .size:           4
        .value_kind:     by_value
      - .offset:         52
        .size:           4
        .value_kind:     by_value
      - .offset:         56
        .size:           8
        .value_kind:     by_value
      - .offset:         64
        .size:           8
        .value_kind:     by_value
      - .offset:         72
        .size:           4
        .value_kind:     hidden_block_count_x
      - .offset:         76
        .size:           4
        .value_kind:     hidden_block_count_y
      - .offset:         80
        .size:           4
        .value_kind:     hidden_block_count_z
      - .offset:         84
        .size:           2
        .value_kind:     hidden_group_size_x
      - .offset:         86
        .size:           2
        .value_kind:     hidden_group_size_y
      - .offset:         88
        .size:           2
        .value_kind:     hidden_group_size_z
      - .offset:         90
        .size:           2
        .value_kind:     hidden_remainder_x
      - .offset:         92
        .size:           2
        .value_kind:     hidden_remainder_y
      - .offset:         94
        .size:           2
        .value_kind:     hidden_remainder_z
      - .offset:         112
        .size:           8
        .value_kind:     hidden_global_offset_x
      - .offset:         120
        .size:           8
        .value_kind:     hidden_global_offset_y
      - .offset:         128
        .size:           8
        .value_kind:     hidden_global_offset_z
      - .offset:         136
        .size:           2
        .value_kind:     hidden_grid_dims
      - .offset:         192
        .size:           4
        .value_kind:     hidden_dynamic_lds_size
    .group_segment_fixed_size: 0
    .kernarg_segment_align: 8
    .kernarg_segment_size: 328
    .language:       OpenCL C
    .language_version:
      - 2
      - 0
    .max_flat_workgroup_size: 1024
    .name:           _ZN9rocsolver6v33100L41conj_nonunit_backward_substitution_kernelI19rocblas_complex_numIfEiPS3_EEvT0_S5_T1_S5_S5_llS6_S5_S5_ll
    .private_segment_fixed_size: 0
    .sgpr_count:     24
    .sgpr_spill_count: 0
    .symbol:         _ZN9rocsolver6v33100L41conj_nonunit_backward_substitution_kernelI19rocblas_complex_numIfEiPS3_EEvT0_S5_T1_S5_S5_llS6_S5_S5_ll.kd
    .uniform_work_group_size: 1
    .uses_dynamic_stack: false
    .vgpr_count:     18
    .vgpr_spill_count: 0
    .wavefront_size: 64
  - .agpr_count:     0
    .args:
      - .offset:         0
        .size:           4
        .value_kind:     by_value
      - .offset:         4
        .size:           4
        .value_kind:     by_value
      - .address_space:  global
        .offset:         8
        .size:           8
        .value_kind:     global_buffer
      - .offset:         16
        .size:           4
        .value_kind:     by_value
      - .offset:         20
        .size:           4
        .value_kind:     by_value
      - .offset:         24
        .size:           8
        .value_kind:     by_value
      - .offset:         32
        .size:           8
        .value_kind:     by_value
      - .address_space:  global
        .offset:         40
        .size:           8
        .value_kind:     global_buffer
      - .offset:         48
        .size:           4
        .value_kind:     by_value
      - .offset:         52
        .size:           4
        .value_kind:     by_value
      - .offset:         56
        .size:           8
        .value_kind:     by_value
      - .offset:         64
        .size:           8
        .value_kind:     by_value
      - .offset:         72
        .size:           4
        .value_kind:     hidden_block_count_x
      - .offset:         76
        .size:           4
        .value_kind:     hidden_block_count_y
      - .offset:         80
        .size:           4
        .value_kind:     hidden_block_count_z
      - .offset:         84
        .size:           2
        .value_kind:     hidden_group_size_x
      - .offset:         86
        .size:           2
        .value_kind:     hidden_group_size_y
      - .offset:         88
        .size:           2
        .value_kind:     hidden_group_size_z
      - .offset:         90
        .size:           2
        .value_kind:     hidden_remainder_x
      - .offset:         92
        .size:           2
        .value_kind:     hidden_remainder_y
      - .offset:         94
        .size:           2
        .value_kind:     hidden_remainder_z
      - .offset:         112
        .size:           8
        .value_kind:     hidden_global_offset_x
      - .offset:         120
        .size:           8
        .value_kind:     hidden_global_offset_y
      - .offset:         128
        .size:           8
        .value_kind:     hidden_global_offset_z
      - .offset:         136
        .size:           2
        .value_kind:     hidden_grid_dims
      - .offset:         192
        .size:           4
        .value_kind:     hidden_dynamic_lds_size
    .group_segment_fixed_size: 0
    .kernarg_segment_align: 8
    .kernarg_segment_size: 328
    .language:       OpenCL C
    .language_version:
      - 2
      - 0
    .max_flat_workgroup_size: 1024
    .name:           _ZN9rocsolver6v33100L33unit_backward_substitution_kernelI19rocblas_complex_numIfEiPS3_EEvT0_S5_T1_S5_S5_llS6_S5_S5_ll
    .private_segment_fixed_size: 0
    .sgpr_count:     24
    .sgpr_spill_count: 0
    .symbol:         _ZN9rocsolver6v33100L33unit_backward_substitution_kernelI19rocblas_complex_numIfEiPS3_EEvT0_S5_T1_S5_S5_llS6_S5_S5_ll.kd
    .uniform_work_group_size: 1
    .uses_dynamic_stack: false
    .vgpr_count:     16
    .vgpr_spill_count: 0
    .wavefront_size: 64
  - .agpr_count:     0
    .args:
      - .offset:         0
        .size:           4
        .value_kind:     by_value
      - .offset:         4
        .size:           4
        .value_kind:     by_value
      - .address_space:  global
        .offset:         8
        .size:           8
        .value_kind:     global_buffer
      - .offset:         16
        .size:           4
        .value_kind:     by_value
      - .offset:         20
        .size:           4
        .value_kind:     by_value
      - .offset:         24
        .size:           8
        .value_kind:     by_value
      - .offset:         32
        .size:           8
        .value_kind:     by_value
      - .address_space:  global
        .offset:         40
        .size:           8
        .value_kind:     global_buffer
      - .offset:         48
        .size:           4
        .value_kind:     by_value
      - .offset:         52
        .size:           4
        .value_kind:     by_value
      - .offset:         56
        .size:           8
        .value_kind:     by_value
      - .offset:         64
        .size:           8
        .value_kind:     by_value
      - .offset:         72
        .size:           4
        .value_kind:     hidden_block_count_x
      - .offset:         76
        .size:           4
        .value_kind:     hidden_block_count_y
      - .offset:         80
        .size:           4
        .value_kind:     hidden_block_count_z
      - .offset:         84
        .size:           2
        .value_kind:     hidden_group_size_x
      - .offset:         86
        .size:           2
        .value_kind:     hidden_group_size_y
      - .offset:         88
        .size:           2
        .value_kind:     hidden_group_size_z
      - .offset:         90
        .size:           2
        .value_kind:     hidden_remainder_x
      - .offset:         92
        .size:           2
        .value_kind:     hidden_remainder_y
      - .offset:         94
        .size:           2
        .value_kind:     hidden_remainder_z
      - .offset:         112
        .size:           8
        .value_kind:     hidden_global_offset_x
      - .offset:         120
        .size:           8
        .value_kind:     hidden_global_offset_y
      - .offset:         128
        .size:           8
        .value_kind:     hidden_global_offset_z
      - .offset:         136
        .size:           2
        .value_kind:     hidden_grid_dims
      - .offset:         192
        .size:           4
        .value_kind:     hidden_dynamic_lds_size
    .group_segment_fixed_size: 0
    .kernarg_segment_align: 8
    .kernarg_segment_size: 328
    .language:       OpenCL C
    .language_version:
      - 2
      - 0
    .max_flat_workgroup_size: 1024
    .name:           _ZN9rocsolver6v33100L36nonunit_backward_substitution_kernelI19rocblas_complex_numIfEiPS3_EEvT0_S5_T1_S5_S5_llS6_S5_S5_ll
    .private_segment_fixed_size: 0
    .sgpr_count:     24
    .sgpr_spill_count: 0
    .symbol:         _ZN9rocsolver6v33100L36nonunit_backward_substitution_kernelI19rocblas_complex_numIfEiPS3_EEvT0_S5_T1_S5_S5_llS6_S5_S5_ll.kd
    .uniform_work_group_size: 1
    .uses_dynamic_stack: false
    .vgpr_count:     18
    .vgpr_spill_count: 0
    .wavefront_size: 64
  - .agpr_count:     0
    .args:
      - .offset:         0
        .size:           4
        .value_kind:     by_value
      - .offset:         4
        .size:           4
        .value_kind:     by_value
      - .address_space:  global
        .offset:         8
        .size:           8
        .value_kind:     global_buffer
      - .offset:         16
        .size:           4
        .value_kind:     by_value
      - .offset:         20
        .size:           4
        .value_kind:     by_value
      - .offset:         24
        .size:           8
        .value_kind:     by_value
      - .offset:         32
        .size:           8
        .value_kind:     by_value
      - .address_space:  global
        .offset:         40
        .size:           8
        .value_kind:     global_buffer
      - .offset:         48
        .size:           4
        .value_kind:     by_value
      - .offset:         52
        .size:           4
        .value_kind:     by_value
      - .offset:         56
        .size:           8
        .value_kind:     by_value
      - .offset:         64
        .size:           8
        .value_kind:     by_value
      - .offset:         72
        .size:           4
        .value_kind:     hidden_block_count_x
      - .offset:         76
        .size:           4
        .value_kind:     hidden_block_count_y
      - .offset:         80
        .size:           4
        .value_kind:     hidden_block_count_z
      - .offset:         84
        .size:           2
        .value_kind:     hidden_group_size_x
      - .offset:         86
        .size:           2
        .value_kind:     hidden_group_size_y
      - .offset:         88
        .size:           2
        .value_kind:     hidden_group_size_z
      - .offset:         90
        .size:           2
        .value_kind:     hidden_remainder_x
      - .offset:         92
        .size:           2
        .value_kind:     hidden_remainder_y
      - .offset:         94
        .size:           2
        .value_kind:     hidden_remainder_z
      - .offset:         112
        .size:           8
        .value_kind:     hidden_global_offset_x
      - .offset:         120
        .size:           8
        .value_kind:     hidden_global_offset_y
      - .offset:         128
        .size:           8
        .value_kind:     hidden_global_offset_z
      - .offset:         136
        .size:           2
        .value_kind:     hidden_grid_dims
      - .offset:         192
        .size:           4
        .value_kind:     hidden_dynamic_lds_size
    .group_segment_fixed_size: 0
    .kernarg_segment_align: 8
    .kernarg_segment_size: 328
    .language:       OpenCL C
    .language_version:
      - 2
      - 0
    .max_flat_workgroup_size: 1024
    .name:           _ZN9rocsolver6v33100L37conj_unit_forward_substitution_kernelI19rocblas_complex_numIfEiPKPS3_EEvT0_S7_T1_S7_S7_llS8_S7_S7_ll
    .private_segment_fixed_size: 0
    .sgpr_count:     18
    .sgpr_spill_count: 0
    .symbol:         _ZN9rocsolver6v33100L37conj_unit_forward_substitution_kernelI19rocblas_complex_numIfEiPKPS3_EEvT0_S7_T1_S7_S7_llS8_S7_S7_ll.kd
    .uniform_work_group_size: 1
    .uses_dynamic_stack: false
    .vgpr_count:     16
    .vgpr_spill_count: 0
    .wavefront_size: 64
  - .agpr_count:     0
    .args:
      - .offset:         0
        .size:           4
        .value_kind:     by_value
      - .offset:         4
        .size:           4
        .value_kind:     by_value
      - .address_space:  global
        .offset:         8
        .size:           8
        .value_kind:     global_buffer
      - .offset:         16
        .size:           4
        .value_kind:     by_value
      - .offset:         20
        .size:           4
        .value_kind:     by_value
      - .offset:         24
        .size:           8
        .value_kind:     by_value
      - .offset:         32
        .size:           8
        .value_kind:     by_value
      - .address_space:  global
        .offset:         40
        .size:           8
        .value_kind:     global_buffer
      - .offset:         48
        .size:           4
        .value_kind:     by_value
      - .offset:         52
        .size:           4
        .value_kind:     by_value
      - .offset:         56
        .size:           8
        .value_kind:     by_value
      - .offset:         64
        .size:           8
        .value_kind:     by_value
      - .offset:         72
        .size:           4
        .value_kind:     hidden_block_count_x
      - .offset:         76
        .size:           4
        .value_kind:     hidden_block_count_y
      - .offset:         80
        .size:           4
        .value_kind:     hidden_block_count_z
      - .offset:         84
        .size:           2
        .value_kind:     hidden_group_size_x
      - .offset:         86
        .size:           2
        .value_kind:     hidden_group_size_y
      - .offset:         88
        .size:           2
        .value_kind:     hidden_group_size_z
      - .offset:         90
        .size:           2
        .value_kind:     hidden_remainder_x
      - .offset:         92
        .size:           2
        .value_kind:     hidden_remainder_y
      - .offset:         94
        .size:           2
        .value_kind:     hidden_remainder_z
      - .offset:         112
        .size:           8
        .value_kind:     hidden_global_offset_x
      - .offset:         120
        .size:           8
        .value_kind:     hidden_global_offset_y
      - .offset:         128
        .size:           8
        .value_kind:     hidden_global_offset_z
      - .offset:         136
        .size:           2
        .value_kind:     hidden_grid_dims
      - .offset:         192
        .size:           4
        .value_kind:     hidden_dynamic_lds_size
    .group_segment_fixed_size: 0
    .kernarg_segment_align: 8
    .kernarg_segment_size: 328
    .language:       OpenCL C
    .language_version:
      - 2
      - 0
    .max_flat_workgroup_size: 1024
    .name:           _ZN9rocsolver6v33100L40conj_nonunit_forward_substitution_kernelI19rocblas_complex_numIfEiPKPS3_EEvT0_S7_T1_S7_S7_llS8_S7_S7_ll
    .private_segment_fixed_size: 0
    .sgpr_count:     24
    .sgpr_spill_count: 0
    .symbol:         _ZN9rocsolver6v33100L40conj_nonunit_forward_substitution_kernelI19rocblas_complex_numIfEiPKPS3_EEvT0_S7_T1_S7_S7_llS8_S7_S7_ll.kd
    .uniform_work_group_size: 1
    .uses_dynamic_stack: false
    .vgpr_count:     18
    .vgpr_spill_count: 0
    .wavefront_size: 64
  - .agpr_count:     0
    .args:
      - .offset:         0
        .size:           4
        .value_kind:     by_value
      - .offset:         4
        .size:           4
        .value_kind:     by_value
      - .address_space:  global
        .offset:         8
        .size:           8
        .value_kind:     global_buffer
      - .offset:         16
        .size:           4
        .value_kind:     by_value
      - .offset:         20
        .size:           4
        .value_kind:     by_value
      - .offset:         24
        .size:           8
        .value_kind:     by_value
      - .offset:         32
        .size:           8
        .value_kind:     by_value
      - .address_space:  global
        .offset:         40
        .size:           8
        .value_kind:     global_buffer
      - .offset:         48
        .size:           4
        .value_kind:     by_value
      - .offset:         52
        .size:           4
        .value_kind:     by_value
      - .offset:         56
        .size:           8
        .value_kind:     by_value
      - .offset:         64
        .size:           8
        .value_kind:     by_value
      - .offset:         72
        .size:           4
        .value_kind:     hidden_block_count_x
      - .offset:         76
        .size:           4
        .value_kind:     hidden_block_count_y
      - .offset:         80
        .size:           4
        .value_kind:     hidden_block_count_z
      - .offset:         84
        .size:           2
        .value_kind:     hidden_group_size_x
      - .offset:         86
        .size:           2
        .value_kind:     hidden_group_size_y
      - .offset:         88
        .size:           2
        .value_kind:     hidden_group_size_z
      - .offset:         90
        .size:           2
        .value_kind:     hidden_remainder_x
      - .offset:         92
        .size:           2
        .value_kind:     hidden_remainder_y
      - .offset:         94
        .size:           2
        .value_kind:     hidden_remainder_z
      - .offset:         112
        .size:           8
        .value_kind:     hidden_global_offset_x
      - .offset:         120
        .size:           8
        .value_kind:     hidden_global_offset_y
      - .offset:         128
        .size:           8
        .value_kind:     hidden_global_offset_z
      - .offset:         136
        .size:           2
        .value_kind:     hidden_grid_dims
      - .offset:         192
        .size:           4
        .value_kind:     hidden_dynamic_lds_size
    .group_segment_fixed_size: 0
    .kernarg_segment_align: 8
    .kernarg_segment_size: 328
    .language:       OpenCL C
    .language_version:
      - 2
      - 0
    .max_flat_workgroup_size: 1024
    .name:           _ZN9rocsolver6v33100L32unit_forward_substitution_kernelI19rocblas_complex_numIfEiPKPS3_EEvT0_S7_T1_S7_S7_llS8_S7_S7_ll
    .private_segment_fixed_size: 0
    .sgpr_count:     18
    .sgpr_spill_count: 0
    .symbol:         _ZN9rocsolver6v33100L32unit_forward_substitution_kernelI19rocblas_complex_numIfEiPKPS3_EEvT0_S7_T1_S7_S7_llS8_S7_S7_ll.kd
    .uniform_work_group_size: 1
    .uses_dynamic_stack: false
    .vgpr_count:     16
    .vgpr_spill_count: 0
    .wavefront_size: 64
  - .agpr_count:     0
    .args:
      - .offset:         0
        .size:           4
        .value_kind:     by_value
      - .offset:         4
        .size:           4
        .value_kind:     by_value
      - .address_space:  global
        .offset:         8
        .size:           8
        .value_kind:     global_buffer
      - .offset:         16
        .size:           4
        .value_kind:     by_value
      - .offset:         20
        .size:           4
        .value_kind:     by_value
      - .offset:         24
        .size:           8
        .value_kind:     by_value
      - .offset:         32
        .size:           8
        .value_kind:     by_value
      - .address_space:  global
        .offset:         40
        .size:           8
        .value_kind:     global_buffer
      - .offset:         48
        .size:           4
        .value_kind:     by_value
      - .offset:         52
        .size:           4
        .value_kind:     by_value
      - .offset:         56
        .size:           8
        .value_kind:     by_value
      - .offset:         64
        .size:           8
        .value_kind:     by_value
      - .offset:         72
        .size:           4
        .value_kind:     hidden_block_count_x
      - .offset:         76
        .size:           4
        .value_kind:     hidden_block_count_y
      - .offset:         80
        .size:           4
        .value_kind:     hidden_block_count_z
      - .offset:         84
        .size:           2
        .value_kind:     hidden_group_size_x
      - .offset:         86
        .size:           2
        .value_kind:     hidden_group_size_y
      - .offset:         88
        .size:           2
        .value_kind:     hidden_group_size_z
      - .offset:         90
        .size:           2
        .value_kind:     hidden_remainder_x
      - .offset:         92
        .size:           2
        .value_kind:     hidden_remainder_y
      - .offset:         94
        .size:           2
        .value_kind:     hidden_remainder_z
      - .offset:         112
        .size:           8
        .value_kind:     hidden_global_offset_x
      - .offset:         120
        .size:           8
        .value_kind:     hidden_global_offset_y
      - .offset:         128
        .size:           8
        .value_kind:     hidden_global_offset_z
      - .offset:         136
        .size:           2
        .value_kind:     hidden_grid_dims
      - .offset:         192
        .size:           4
        .value_kind:     hidden_dynamic_lds_size
    .group_segment_fixed_size: 0
    .kernarg_segment_align: 8
    .kernarg_segment_size: 328
    .language:       OpenCL C
    .language_version:
      - 2
      - 0
    .max_flat_workgroup_size: 1024
    .name:           _ZN9rocsolver6v33100L35nonunit_forward_substitution_kernelI19rocblas_complex_numIfEiPKPS3_EEvT0_S7_T1_S7_S7_llS8_S7_S7_ll
    .private_segment_fixed_size: 0
    .sgpr_count:     24
    .sgpr_spill_count: 0
    .symbol:         _ZN9rocsolver6v33100L35nonunit_forward_substitution_kernelI19rocblas_complex_numIfEiPKPS3_EEvT0_S7_T1_S7_S7_llS8_S7_S7_ll.kd
    .uniform_work_group_size: 1
    .uses_dynamic_stack: false
    .vgpr_count:     18
    .vgpr_spill_count: 0
    .wavefront_size: 64
  - .agpr_count:     0
    .args:
      - .offset:         0
        .size:           4
        .value_kind:     by_value
      - .offset:         4
        .size:           4
        .value_kind:     by_value
      - .address_space:  global
        .offset:         8
        .size:           8
        .value_kind:     global_buffer
      - .offset:         16
        .size:           4
        .value_kind:     by_value
      - .offset:         20
        .size:           4
        .value_kind:     by_value
      - .offset:         24
        .size:           8
        .value_kind:     by_value
      - .offset:         32
        .size:           8
        .value_kind:     by_value
      - .address_space:  global
        .offset:         40
        .size:           8
        .value_kind:     global_buffer
      - .offset:         48
        .size:           4
        .value_kind:     by_value
      - .offset:         52
        .size:           4
        .value_kind:     by_value
      - .offset:         56
        .size:           8
        .value_kind:     by_value
      - .offset:         64
        .size:           8
        .value_kind:     by_value
      - .offset:         72
        .size:           4
        .value_kind:     hidden_block_count_x
      - .offset:         76
        .size:           4
        .value_kind:     hidden_block_count_y
      - .offset:         80
        .size:           4
        .value_kind:     hidden_block_count_z
      - .offset:         84
        .size:           2
        .value_kind:     hidden_group_size_x
      - .offset:         86
        .size:           2
        .value_kind:     hidden_group_size_y
      - .offset:         88
        .size:           2
        .value_kind:     hidden_group_size_z
      - .offset:         90
        .size:           2
        .value_kind:     hidden_remainder_x
      - .offset:         92
        .size:           2
        .value_kind:     hidden_remainder_y
      - .offset:         94
        .size:           2
        .value_kind:     hidden_remainder_z
      - .offset:         112
        .size:           8
        .value_kind:     hidden_global_offset_x
      - .offset:         120
        .size:           8
        .value_kind:     hidden_global_offset_y
      - .offset:         128
        .size:           8
        .value_kind:     hidden_global_offset_z
      - .offset:         136
        .size:           2
        .value_kind:     hidden_grid_dims
      - .offset:         192
        .size:           4
        .value_kind:     hidden_dynamic_lds_size
    .group_segment_fixed_size: 0
    .kernarg_segment_align: 8
    .kernarg_segment_size: 328
    .language:       OpenCL C
    .language_version:
      - 2
      - 0
    .max_flat_workgroup_size: 1024
    .name:           _ZN9rocsolver6v33100L38conj_unit_backward_substitution_kernelI19rocblas_complex_numIfEiPKPS3_EEvT0_S7_T1_S7_S7_llS8_S7_S7_ll
    .private_segment_fixed_size: 0
    .sgpr_count:     18
    .sgpr_spill_count: 0
    .symbol:         _ZN9rocsolver6v33100L38conj_unit_backward_substitution_kernelI19rocblas_complex_numIfEiPKPS3_EEvT0_S7_T1_S7_S7_llS8_S7_S7_ll.kd
    .uniform_work_group_size: 1
    .uses_dynamic_stack: false
    .vgpr_count:     16
    .vgpr_spill_count: 0
    .wavefront_size: 64
  - .agpr_count:     0
    .args:
      - .offset:         0
        .size:           4
        .value_kind:     by_value
      - .offset:         4
        .size:           4
        .value_kind:     by_value
      - .address_space:  global
        .offset:         8
        .size:           8
        .value_kind:     global_buffer
      - .offset:         16
        .size:           4
        .value_kind:     by_value
      - .offset:         20
        .size:           4
        .value_kind:     by_value
      - .offset:         24
        .size:           8
        .value_kind:     by_value
      - .offset:         32
        .size:           8
        .value_kind:     by_value
      - .address_space:  global
        .offset:         40
        .size:           8
        .value_kind:     global_buffer
      - .offset:         48
        .size:           4
        .value_kind:     by_value
      - .offset:         52
        .size:           4
        .value_kind:     by_value
      - .offset:         56
        .size:           8
        .value_kind:     by_value
      - .offset:         64
        .size:           8
        .value_kind:     by_value
      - .offset:         72
        .size:           4
        .value_kind:     hidden_block_count_x
      - .offset:         76
        .size:           4
        .value_kind:     hidden_block_count_y
      - .offset:         80
        .size:           4
        .value_kind:     hidden_block_count_z
      - .offset:         84
        .size:           2
        .value_kind:     hidden_group_size_x
      - .offset:         86
        .size:           2
        .value_kind:     hidden_group_size_y
      - .offset:         88
        .size:           2
        .value_kind:     hidden_group_size_z
      - .offset:         90
        .size:           2
        .value_kind:     hidden_remainder_x
      - .offset:         92
        .size:           2
        .value_kind:     hidden_remainder_y
      - .offset:         94
        .size:           2
        .value_kind:     hidden_remainder_z
      - .offset:         112
        .size:           8
        .value_kind:     hidden_global_offset_x
      - .offset:         120
        .size:           8
        .value_kind:     hidden_global_offset_y
      - .offset:         128
        .size:           8
        .value_kind:     hidden_global_offset_z
      - .offset:         136
        .size:           2
        .value_kind:     hidden_grid_dims
      - .offset:         192
        .size:           4
        .value_kind:     hidden_dynamic_lds_size
    .group_segment_fixed_size: 0
    .kernarg_segment_align: 8
    .kernarg_segment_size: 328
    .language:       OpenCL C
    .language_version:
      - 2
      - 0
    .max_flat_workgroup_size: 1024
    .name:           _ZN9rocsolver6v33100L41conj_nonunit_backward_substitution_kernelI19rocblas_complex_numIfEiPKPS3_EEvT0_S7_T1_S7_S7_llS8_S7_S7_ll
    .private_segment_fixed_size: 0
    .sgpr_count:     22
    .sgpr_spill_count: 0
    .symbol:         _ZN9rocsolver6v33100L41conj_nonunit_backward_substitution_kernelI19rocblas_complex_numIfEiPKPS3_EEvT0_S7_T1_S7_S7_llS8_S7_S7_ll.kd
    .uniform_work_group_size: 1
    .uses_dynamic_stack: false
    .vgpr_count:     18
    .vgpr_spill_count: 0
    .wavefront_size: 64
  - .agpr_count:     0
    .args:
      - .offset:         0
        .size:           4
        .value_kind:     by_value
      - .offset:         4
        .size:           4
        .value_kind:     by_value
      - .address_space:  global
        .offset:         8
        .size:           8
        .value_kind:     global_buffer
      - .offset:         16
        .size:           4
        .value_kind:     by_value
      - .offset:         20
        .size:           4
        .value_kind:     by_value
      - .offset:         24
        .size:           8
        .value_kind:     by_value
      - .offset:         32
        .size:           8
        .value_kind:     by_value
      - .address_space:  global
        .offset:         40
        .size:           8
        .value_kind:     global_buffer
      - .offset:         48
        .size:           4
        .value_kind:     by_value
      - .offset:         52
        .size:           4
        .value_kind:     by_value
      - .offset:         56
        .size:           8
        .value_kind:     by_value
      - .offset:         64
        .size:           8
        .value_kind:     by_value
      - .offset:         72
        .size:           4
        .value_kind:     hidden_block_count_x
      - .offset:         76
        .size:           4
        .value_kind:     hidden_block_count_y
      - .offset:         80
        .size:           4
        .value_kind:     hidden_block_count_z
      - .offset:         84
        .size:           2
        .value_kind:     hidden_group_size_x
      - .offset:         86
        .size:           2
        .value_kind:     hidden_group_size_y
      - .offset:         88
        .size:           2
        .value_kind:     hidden_group_size_z
      - .offset:         90
        .size:           2
        .value_kind:     hidden_remainder_x
      - .offset:         92
        .size:           2
        .value_kind:     hidden_remainder_y
      - .offset:         94
        .size:           2
        .value_kind:     hidden_remainder_z
      - .offset:         112
        .size:           8
        .value_kind:     hidden_global_offset_x
      - .offset:         120
        .size:           8
        .value_kind:     hidden_global_offset_y
      - .offset:         128
        .size:           8
        .value_kind:     hidden_global_offset_z
      - .offset:         136
        .size:           2
        .value_kind:     hidden_grid_dims
      - .offset:         192
        .size:           4
        .value_kind:     hidden_dynamic_lds_size
    .group_segment_fixed_size: 0
    .kernarg_segment_align: 8
    .kernarg_segment_size: 328
    .language:       OpenCL C
    .language_version:
      - 2
      - 0
    .max_flat_workgroup_size: 1024
    .name:           _ZN9rocsolver6v33100L33unit_backward_substitution_kernelI19rocblas_complex_numIfEiPKPS3_EEvT0_S7_T1_S7_S7_llS8_S7_S7_ll
    .private_segment_fixed_size: 0
    .sgpr_count:     18
    .sgpr_spill_count: 0
    .symbol:         _ZN9rocsolver6v33100L33unit_backward_substitution_kernelI19rocblas_complex_numIfEiPKPS3_EEvT0_S7_T1_S7_S7_llS8_S7_S7_ll.kd
    .uniform_work_group_size: 1
    .uses_dynamic_stack: false
    .vgpr_count:     16
    .vgpr_spill_count: 0
    .wavefront_size: 64
  - .agpr_count:     0
    .args:
      - .offset:         0
        .size:           4
        .value_kind:     by_value
      - .offset:         4
        .size:           4
        .value_kind:     by_value
      - .address_space:  global
        .offset:         8
        .size:           8
        .value_kind:     global_buffer
      - .offset:         16
        .size:           4
        .value_kind:     by_value
      - .offset:         20
        .size:           4
        .value_kind:     by_value
      - .offset:         24
        .size:           8
        .value_kind:     by_value
      - .offset:         32
        .size:           8
        .value_kind:     by_value
      - .address_space:  global
        .offset:         40
        .size:           8
        .value_kind:     global_buffer
      - .offset:         48
        .size:           4
        .value_kind:     by_value
      - .offset:         52
        .size:           4
        .value_kind:     by_value
      - .offset:         56
        .size:           8
        .value_kind:     by_value
      - .offset:         64
        .size:           8
        .value_kind:     by_value
      - .offset:         72
        .size:           4
        .value_kind:     hidden_block_count_x
      - .offset:         76
        .size:           4
        .value_kind:     hidden_block_count_y
      - .offset:         80
        .size:           4
        .value_kind:     hidden_block_count_z
      - .offset:         84
        .size:           2
        .value_kind:     hidden_group_size_x
      - .offset:         86
        .size:           2
        .value_kind:     hidden_group_size_y
      - .offset:         88
        .size:           2
        .value_kind:     hidden_group_size_z
      - .offset:         90
        .size:           2
        .value_kind:     hidden_remainder_x
      - .offset:         92
        .size:           2
        .value_kind:     hidden_remainder_y
      - .offset:         94
        .size:           2
        .value_kind:     hidden_remainder_z
      - .offset:         112
        .size:           8
        .value_kind:     hidden_global_offset_x
      - .offset:         120
        .size:           8
        .value_kind:     hidden_global_offset_y
      - .offset:         128
        .size:           8
        .value_kind:     hidden_global_offset_z
      - .offset:         136
        .size:           2
        .value_kind:     hidden_grid_dims
      - .offset:         192
        .size:           4
        .value_kind:     hidden_dynamic_lds_size
    .group_segment_fixed_size: 0
    .kernarg_segment_align: 8
    .kernarg_segment_size: 328
    .language:       OpenCL C
    .language_version:
      - 2
      - 0
    .max_flat_workgroup_size: 1024
    .name:           _ZN9rocsolver6v33100L36nonunit_backward_substitution_kernelI19rocblas_complex_numIfEiPKPS3_EEvT0_S7_T1_S7_S7_llS8_S7_S7_ll
    .private_segment_fixed_size: 0
    .sgpr_count:     22
    .sgpr_spill_count: 0
    .symbol:         _ZN9rocsolver6v33100L36nonunit_backward_substitution_kernelI19rocblas_complex_numIfEiPKPS3_EEvT0_S7_T1_S7_S7_llS8_S7_S7_ll.kd
    .uniform_work_group_size: 1
    .uses_dynamic_stack: false
    .vgpr_count:     18
    .vgpr_spill_count: 0
    .wavefront_size: 64
  - .agpr_count:     0
    .args:
      - .offset:         0
        .size:           8
        .value_kind:     by_value
      - .offset:         8
        .size:           8
        .value_kind:     by_value
      - .address_space:  global
        .offset:         16
        .size:           8
        .value_kind:     global_buffer
      - .offset:         24
        .size:           8
        .value_kind:     by_value
      - .offset:         32
        .size:           8
        .value_kind:     by_value
      - .offset:         40
        .size:           8
        .value_kind:     by_value
      - .offset:         48
        .size:           8
        .value_kind:     by_value
      - .address_space:  global
        .offset:         56
        .size:           8
        .value_kind:     global_buffer
      - .offset:         64
        .size:           8
        .value_kind:     by_value
      - .offset:         72
        .size:           8
        .value_kind:     by_value
      - .offset:         80
        .size:           8
        .value_kind:     by_value
      - .offset:         88
        .size:           8
        .value_kind:     by_value
      - .offset:         96
        .size:           4
        .value_kind:     hidden_block_count_x
      - .offset:         100
        .size:           4
        .value_kind:     hidden_block_count_y
      - .offset:         104
        .size:           4
        .value_kind:     hidden_block_count_z
      - .offset:         108
        .size:           2
        .value_kind:     hidden_group_size_x
      - .offset:         110
        .size:           2
        .value_kind:     hidden_group_size_y
      - .offset:         112
        .size:           2
        .value_kind:     hidden_group_size_z
      - .offset:         114
        .size:           2
        .value_kind:     hidden_remainder_x
      - .offset:         116
        .size:           2
        .value_kind:     hidden_remainder_y
      - .offset:         118
        .size:           2
        .value_kind:     hidden_remainder_z
      - .offset:         136
        .size:           8
        .value_kind:     hidden_global_offset_x
      - .offset:         144
        .size:           8
        .value_kind:     hidden_global_offset_y
      - .offset:         152
        .size:           8
        .value_kind:     hidden_global_offset_z
      - .offset:         160
        .size:           2
        .value_kind:     hidden_grid_dims
      - .offset:         216
        .size:           4
        .value_kind:     hidden_dynamic_lds_size
    .group_segment_fixed_size: 0
    .kernarg_segment_align: 8
    .kernarg_segment_size: 352
    .language:       OpenCL C
    .language_version:
      - 2
      - 0
    .max_flat_workgroup_size: 1024
    .name:           _ZN9rocsolver6v33100L37conj_unit_forward_substitution_kernelI19rocblas_complex_numIfElPS3_EEvT0_S5_T1_S5_S5_llS6_S5_S5_ll
    .private_segment_fixed_size: 0
    .sgpr_count:     32
    .sgpr_spill_count: 0
    .symbol:         _ZN9rocsolver6v33100L37conj_unit_forward_substitution_kernelI19rocblas_complex_numIfElPS3_EEvT0_S5_T1_S5_S5_llS6_S5_S5_ll.kd
    .uniform_work_group_size: 1
    .uses_dynamic_stack: false
    .vgpr_count:     18
    .vgpr_spill_count: 0
    .wavefront_size: 64
  - .agpr_count:     0
    .args:
      - .offset:         0
        .size:           8
        .value_kind:     by_value
      - .offset:         8
        .size:           8
        .value_kind:     by_value
      - .address_space:  global
        .offset:         16
        .size:           8
        .value_kind:     global_buffer
      - .offset:         24
        .size:           8
        .value_kind:     by_value
      - .offset:         32
        .size:           8
        .value_kind:     by_value
      - .offset:         40
        .size:           8
        .value_kind:     by_value
      - .offset:         48
        .size:           8
        .value_kind:     by_value
      - .address_space:  global
        .offset:         56
        .size:           8
        .value_kind:     global_buffer
      - .offset:         64
        .size:           8
        .value_kind:     by_value
      - .offset:         72
        .size:           8
        .value_kind:     by_value
      - .offset:         80
        .size:           8
        .value_kind:     by_value
      - .offset:         88
        .size:           8
        .value_kind:     by_value
      - .offset:         96
        .size:           4
        .value_kind:     hidden_block_count_x
      - .offset:         100
        .size:           4
        .value_kind:     hidden_block_count_y
      - .offset:         104
        .size:           4
        .value_kind:     hidden_block_count_z
      - .offset:         108
        .size:           2
        .value_kind:     hidden_group_size_x
      - .offset:         110
        .size:           2
        .value_kind:     hidden_group_size_y
      - .offset:         112
        .size:           2
        .value_kind:     hidden_group_size_z
      - .offset:         114
        .size:           2
        .value_kind:     hidden_remainder_x
      - .offset:         116
        .size:           2
        .value_kind:     hidden_remainder_y
      - .offset:         118
        .size:           2
        .value_kind:     hidden_remainder_z
      - .offset:         136
        .size:           8
        .value_kind:     hidden_global_offset_x
      - .offset:         144
        .size:           8
        .value_kind:     hidden_global_offset_y
      - .offset:         152
        .size:           8
        .value_kind:     hidden_global_offset_z
      - .offset:         160
        .size:           2
        .value_kind:     hidden_grid_dims
      - .offset:         216
        .size:           4
        .value_kind:     hidden_dynamic_lds_size
    .group_segment_fixed_size: 0
    .kernarg_segment_align: 8
    .kernarg_segment_size: 352
    .language:       OpenCL C
    .language_version:
      - 2
      - 0
    .max_flat_workgroup_size: 1024
    .name:           _ZN9rocsolver6v33100L40conj_nonunit_forward_substitution_kernelI19rocblas_complex_numIfElPS3_EEvT0_S5_T1_S5_S5_llS6_S5_S5_ll
    .private_segment_fixed_size: 0
    .sgpr_count:     48
    .sgpr_spill_count: 0
    .symbol:         _ZN9rocsolver6v33100L40conj_nonunit_forward_substitution_kernelI19rocblas_complex_numIfElPS3_EEvT0_S5_T1_S5_S5_llS6_S5_S5_ll.kd
    .uniform_work_group_size: 1
    .uses_dynamic_stack: false
    .vgpr_count:     20
    .vgpr_spill_count: 0
    .wavefront_size: 64
  - .agpr_count:     0
    .args:
      - .offset:         0
        .size:           8
        .value_kind:     by_value
      - .offset:         8
        .size:           8
        .value_kind:     by_value
      - .address_space:  global
        .offset:         16
        .size:           8
        .value_kind:     global_buffer
      - .offset:         24
        .size:           8
        .value_kind:     by_value
      - .offset:         32
        .size:           8
        .value_kind:     by_value
      - .offset:         40
        .size:           8
        .value_kind:     by_value
      - .offset:         48
        .size:           8
        .value_kind:     by_value
      - .address_space:  global
        .offset:         56
        .size:           8
        .value_kind:     global_buffer
      - .offset:         64
        .size:           8
        .value_kind:     by_value
      - .offset:         72
        .size:           8
        .value_kind:     by_value
      - .offset:         80
        .size:           8
        .value_kind:     by_value
      - .offset:         88
        .size:           8
        .value_kind:     by_value
      - .offset:         96
        .size:           4
        .value_kind:     hidden_block_count_x
      - .offset:         100
        .size:           4
        .value_kind:     hidden_block_count_y
      - .offset:         104
        .size:           4
        .value_kind:     hidden_block_count_z
      - .offset:         108
        .size:           2
        .value_kind:     hidden_group_size_x
      - .offset:         110
        .size:           2
        .value_kind:     hidden_group_size_y
      - .offset:         112
        .size:           2
        .value_kind:     hidden_group_size_z
      - .offset:         114
        .size:           2
        .value_kind:     hidden_remainder_x
      - .offset:         116
        .size:           2
        .value_kind:     hidden_remainder_y
      - .offset:         118
        .size:           2
        .value_kind:     hidden_remainder_z
      - .offset:         136
        .size:           8
        .value_kind:     hidden_global_offset_x
      - .offset:         144
        .size:           8
        .value_kind:     hidden_global_offset_y
      - .offset:         152
        .size:           8
        .value_kind:     hidden_global_offset_z
      - .offset:         160
        .size:           2
        .value_kind:     hidden_grid_dims
      - .offset:         216
        .size:           4
        .value_kind:     hidden_dynamic_lds_size
    .group_segment_fixed_size: 0
    .kernarg_segment_align: 8
    .kernarg_segment_size: 352
    .language:       OpenCL C
    .language_version:
      - 2
      - 0
    .max_flat_workgroup_size: 1024
    .name:           _ZN9rocsolver6v33100L32unit_forward_substitution_kernelI19rocblas_complex_numIfElPS3_EEvT0_S5_T1_S5_S5_llS6_S5_S5_ll
    .private_segment_fixed_size: 0
    .sgpr_count:     32
    .sgpr_spill_count: 0
    .symbol:         _ZN9rocsolver6v33100L32unit_forward_substitution_kernelI19rocblas_complex_numIfElPS3_EEvT0_S5_T1_S5_S5_llS6_S5_S5_ll.kd
    .uniform_work_group_size: 1
    .uses_dynamic_stack: false
    .vgpr_count:     18
    .vgpr_spill_count: 0
    .wavefront_size: 64
  - .agpr_count:     0
    .args:
      - .offset:         0
        .size:           8
        .value_kind:     by_value
      - .offset:         8
        .size:           8
        .value_kind:     by_value
      - .address_space:  global
        .offset:         16
        .size:           8
        .value_kind:     global_buffer
      - .offset:         24
        .size:           8
        .value_kind:     by_value
      - .offset:         32
        .size:           8
        .value_kind:     by_value
      - .offset:         40
        .size:           8
        .value_kind:     by_value
      - .offset:         48
        .size:           8
        .value_kind:     by_value
      - .address_space:  global
        .offset:         56
        .size:           8
        .value_kind:     global_buffer
      - .offset:         64
        .size:           8
        .value_kind:     by_value
      - .offset:         72
        .size:           8
        .value_kind:     by_value
      - .offset:         80
        .size:           8
        .value_kind:     by_value
      - .offset:         88
        .size:           8
        .value_kind:     by_value
      - .offset:         96
        .size:           4
        .value_kind:     hidden_block_count_x
      - .offset:         100
        .size:           4
        .value_kind:     hidden_block_count_y
      - .offset:         104
        .size:           4
        .value_kind:     hidden_block_count_z
      - .offset:         108
        .size:           2
        .value_kind:     hidden_group_size_x
      - .offset:         110
        .size:           2
        .value_kind:     hidden_group_size_y
      - .offset:         112
        .size:           2
        .value_kind:     hidden_group_size_z
      - .offset:         114
        .size:           2
        .value_kind:     hidden_remainder_x
      - .offset:         116
        .size:           2
        .value_kind:     hidden_remainder_y
      - .offset:         118
        .size:           2
        .value_kind:     hidden_remainder_z
      - .offset:         136
        .size:           8
        .value_kind:     hidden_global_offset_x
      - .offset:         144
        .size:           8
        .value_kind:     hidden_global_offset_y
      - .offset:         152
        .size:           8
        .value_kind:     hidden_global_offset_z
      - .offset:         160
        .size:           2
        .value_kind:     hidden_grid_dims
      - .offset:         216
        .size:           4
        .value_kind:     hidden_dynamic_lds_size
    .group_segment_fixed_size: 0
    .kernarg_segment_align: 8
    .kernarg_segment_size: 352
    .language:       OpenCL C
    .language_version:
      - 2
      - 0
    .max_flat_workgroup_size: 1024
    .name:           _ZN9rocsolver6v33100L35nonunit_forward_substitution_kernelI19rocblas_complex_numIfElPS3_EEvT0_S5_T1_S5_S5_llS6_S5_S5_ll
    .private_segment_fixed_size: 0
    .sgpr_count:     32
    .sgpr_spill_count: 0
    .symbol:         _ZN9rocsolver6v33100L35nonunit_forward_substitution_kernelI19rocblas_complex_numIfElPS3_EEvT0_S5_T1_S5_S5_llS6_S5_S5_ll.kd
    .uniform_work_group_size: 1
    .uses_dynamic_stack: false
    .vgpr_count:     20
    .vgpr_spill_count: 0
    .wavefront_size: 64
  - .agpr_count:     0
    .args:
      - .offset:         0
        .size:           8
        .value_kind:     by_value
      - .offset:         8
        .size:           8
        .value_kind:     by_value
      - .address_space:  global
        .offset:         16
        .size:           8
        .value_kind:     global_buffer
      - .offset:         24
        .size:           8
        .value_kind:     by_value
      - .offset:         32
        .size:           8
        .value_kind:     by_value
      - .offset:         40
        .size:           8
        .value_kind:     by_value
      - .offset:         48
        .size:           8
        .value_kind:     by_value
      - .address_space:  global
        .offset:         56
        .size:           8
        .value_kind:     global_buffer
      - .offset:         64
        .size:           8
        .value_kind:     by_value
      - .offset:         72
        .size:           8
        .value_kind:     by_value
      - .offset:         80
        .size:           8
        .value_kind:     by_value
      - .offset:         88
        .size:           8
        .value_kind:     by_value
      - .offset:         96
        .size:           4
        .value_kind:     hidden_block_count_x
      - .offset:         100
        .size:           4
        .value_kind:     hidden_block_count_y
      - .offset:         104
        .size:           4
        .value_kind:     hidden_block_count_z
      - .offset:         108
        .size:           2
        .value_kind:     hidden_group_size_x
      - .offset:         110
        .size:           2
        .value_kind:     hidden_group_size_y
      - .offset:         112
        .size:           2
        .value_kind:     hidden_group_size_z
      - .offset:         114
        .size:           2
        .value_kind:     hidden_remainder_x
      - .offset:         116
        .size:           2
        .value_kind:     hidden_remainder_y
      - .offset:         118
        .size:           2
        .value_kind:     hidden_remainder_z
      - .offset:         136
        .size:           8
        .value_kind:     hidden_global_offset_x
      - .offset:         144
        .size:           8
        .value_kind:     hidden_global_offset_y
      - .offset:         152
        .size:           8
        .value_kind:     hidden_global_offset_z
      - .offset:         160
        .size:           2
        .value_kind:     hidden_grid_dims
      - .offset:         216
        .size:           4
        .value_kind:     hidden_dynamic_lds_size
    .group_segment_fixed_size: 0
    .kernarg_segment_align: 8
    .kernarg_segment_size: 352
    .language:       OpenCL C
    .language_version:
      - 2
      - 0
    .max_flat_workgroup_size: 1024
    .name:           _ZN9rocsolver6v33100L38conj_unit_backward_substitution_kernelI19rocblas_complex_numIfElPS3_EEvT0_S5_T1_S5_S5_llS6_S5_S5_ll
    .private_segment_fixed_size: 0
    .sgpr_count:     32
    .sgpr_spill_count: 0
    .symbol:         _ZN9rocsolver6v33100L38conj_unit_backward_substitution_kernelI19rocblas_complex_numIfElPS3_EEvT0_S5_T1_S5_S5_llS6_S5_S5_ll.kd
    .uniform_work_group_size: 1
    .uses_dynamic_stack: false
    .vgpr_count:     18
    .vgpr_spill_count: 0
    .wavefront_size: 64
  - .agpr_count:     0
    .args:
      - .offset:         0
        .size:           8
        .value_kind:     by_value
      - .offset:         8
        .size:           8
        .value_kind:     by_value
      - .address_space:  global
        .offset:         16
        .size:           8
        .value_kind:     global_buffer
      - .offset:         24
        .size:           8
        .value_kind:     by_value
      - .offset:         32
        .size:           8
        .value_kind:     by_value
      - .offset:         40
        .size:           8
        .value_kind:     by_value
      - .offset:         48
        .size:           8
        .value_kind:     by_value
      - .address_space:  global
        .offset:         56
        .size:           8
        .value_kind:     global_buffer
      - .offset:         64
        .size:           8
        .value_kind:     by_value
      - .offset:         72
        .size:           8
        .value_kind:     by_value
      - .offset:         80
        .size:           8
        .value_kind:     by_value
      - .offset:         88
        .size:           8
        .value_kind:     by_value
      - .offset:         96
        .size:           4
        .value_kind:     hidden_block_count_x
      - .offset:         100
        .size:           4
        .value_kind:     hidden_block_count_y
      - .offset:         104
        .size:           4
        .value_kind:     hidden_block_count_z
      - .offset:         108
        .size:           2
        .value_kind:     hidden_group_size_x
      - .offset:         110
        .size:           2
        .value_kind:     hidden_group_size_y
      - .offset:         112
        .size:           2
        .value_kind:     hidden_group_size_z
      - .offset:         114
        .size:           2
        .value_kind:     hidden_remainder_x
      - .offset:         116
        .size:           2
        .value_kind:     hidden_remainder_y
      - .offset:         118
        .size:           2
        .value_kind:     hidden_remainder_z
      - .offset:         136
        .size:           8
        .value_kind:     hidden_global_offset_x
      - .offset:         144
        .size:           8
        .value_kind:     hidden_global_offset_y
      - .offset:         152
        .size:           8
        .value_kind:     hidden_global_offset_z
      - .offset:         160
        .size:           2
        .value_kind:     hidden_grid_dims
      - .offset:         216
        .size:           4
        .value_kind:     hidden_dynamic_lds_size
    .group_segment_fixed_size: 0
    .kernarg_segment_align: 8
    .kernarg_segment_size: 352
    .language:       OpenCL C
    .language_version:
      - 2
      - 0
    .max_flat_workgroup_size: 1024
    .name:           _ZN9rocsolver6v33100L41conj_nonunit_backward_substitution_kernelI19rocblas_complex_numIfElPS3_EEvT0_S5_T1_S5_S5_llS6_S5_S5_ll
    .private_segment_fixed_size: 0
    .sgpr_count:     48
    .sgpr_spill_count: 0
    .symbol:         _ZN9rocsolver6v33100L41conj_nonunit_backward_substitution_kernelI19rocblas_complex_numIfElPS3_EEvT0_S5_T1_S5_S5_llS6_S5_S5_ll.kd
    .uniform_work_group_size: 1
    .uses_dynamic_stack: false
    .vgpr_count:     20
    .vgpr_spill_count: 0
    .wavefront_size: 64
  - .agpr_count:     0
    .args:
      - .offset:         0
        .size:           8
        .value_kind:     by_value
      - .offset:         8
        .size:           8
        .value_kind:     by_value
      - .address_space:  global
        .offset:         16
        .size:           8
        .value_kind:     global_buffer
      - .offset:         24
        .size:           8
        .value_kind:     by_value
      - .offset:         32
        .size:           8
        .value_kind:     by_value
      - .offset:         40
        .size:           8
        .value_kind:     by_value
      - .offset:         48
        .size:           8
        .value_kind:     by_value
      - .address_space:  global
        .offset:         56
        .size:           8
        .value_kind:     global_buffer
      - .offset:         64
        .size:           8
        .value_kind:     by_value
      - .offset:         72
        .size:           8
        .value_kind:     by_value
      - .offset:         80
        .size:           8
        .value_kind:     by_value
      - .offset:         88
        .size:           8
        .value_kind:     by_value
      - .offset:         96
        .size:           4
        .value_kind:     hidden_block_count_x
      - .offset:         100
        .size:           4
        .value_kind:     hidden_block_count_y
      - .offset:         104
        .size:           4
        .value_kind:     hidden_block_count_z
      - .offset:         108
        .size:           2
        .value_kind:     hidden_group_size_x
      - .offset:         110
        .size:           2
        .value_kind:     hidden_group_size_y
      - .offset:         112
        .size:           2
        .value_kind:     hidden_group_size_z
      - .offset:         114
        .size:           2
        .value_kind:     hidden_remainder_x
      - .offset:         116
        .size:           2
        .value_kind:     hidden_remainder_y
      - .offset:         118
        .size:           2
        .value_kind:     hidden_remainder_z
      - .offset:         136
        .size:           8
        .value_kind:     hidden_global_offset_x
      - .offset:         144
        .size:           8
        .value_kind:     hidden_global_offset_y
      - .offset:         152
        .size:           8
        .value_kind:     hidden_global_offset_z
      - .offset:         160
        .size:           2
        .value_kind:     hidden_grid_dims
      - .offset:         216
        .size:           4
        .value_kind:     hidden_dynamic_lds_size
    .group_segment_fixed_size: 0
    .kernarg_segment_align: 8
    .kernarg_segment_size: 352
    .language:       OpenCL C
    .language_version:
      - 2
      - 0
    .max_flat_workgroup_size: 1024
    .name:           _ZN9rocsolver6v33100L33unit_backward_substitution_kernelI19rocblas_complex_numIfElPS3_EEvT0_S5_T1_S5_S5_llS6_S5_S5_ll
    .private_segment_fixed_size: 0
    .sgpr_count:     32
    .sgpr_spill_count: 0
    .symbol:         _ZN9rocsolver6v33100L33unit_backward_substitution_kernelI19rocblas_complex_numIfElPS3_EEvT0_S5_T1_S5_S5_llS6_S5_S5_ll.kd
    .uniform_work_group_size: 1
    .uses_dynamic_stack: false
    .vgpr_count:     18
    .vgpr_spill_count: 0
    .wavefront_size: 64
  - .agpr_count:     0
    .args:
      - .offset:         0
        .size:           8
        .value_kind:     by_value
      - .offset:         8
        .size:           8
        .value_kind:     by_value
      - .address_space:  global
        .offset:         16
        .size:           8
        .value_kind:     global_buffer
      - .offset:         24
        .size:           8
        .value_kind:     by_value
      - .offset:         32
        .size:           8
        .value_kind:     by_value
      - .offset:         40
        .size:           8
        .value_kind:     by_value
      - .offset:         48
        .size:           8
        .value_kind:     by_value
      - .address_space:  global
        .offset:         56
        .size:           8
        .value_kind:     global_buffer
      - .offset:         64
        .size:           8
        .value_kind:     by_value
      - .offset:         72
        .size:           8
        .value_kind:     by_value
      - .offset:         80
        .size:           8
        .value_kind:     by_value
      - .offset:         88
        .size:           8
        .value_kind:     by_value
      - .offset:         96
        .size:           4
        .value_kind:     hidden_block_count_x
      - .offset:         100
        .size:           4
        .value_kind:     hidden_block_count_y
      - .offset:         104
        .size:           4
        .value_kind:     hidden_block_count_z
      - .offset:         108
        .size:           2
        .value_kind:     hidden_group_size_x
      - .offset:         110
        .size:           2
        .value_kind:     hidden_group_size_y
      - .offset:         112
        .size:           2
        .value_kind:     hidden_group_size_z
      - .offset:         114
        .size:           2
        .value_kind:     hidden_remainder_x
      - .offset:         116
        .size:           2
        .value_kind:     hidden_remainder_y
      - .offset:         118
        .size:           2
        .value_kind:     hidden_remainder_z
      - .offset:         136
        .size:           8
        .value_kind:     hidden_global_offset_x
      - .offset:         144
        .size:           8
        .value_kind:     hidden_global_offset_y
      - .offset:         152
        .size:           8
        .value_kind:     hidden_global_offset_z
      - .offset:         160
        .size:           2
        .value_kind:     hidden_grid_dims
      - .offset:         216
        .size:           4
        .value_kind:     hidden_dynamic_lds_size
    .group_segment_fixed_size: 0
    .kernarg_segment_align: 8
    .kernarg_segment_size: 352
    .language:       OpenCL C
    .language_version:
      - 2
      - 0
    .max_flat_workgroup_size: 1024
    .name:           _ZN9rocsolver6v33100L36nonunit_backward_substitution_kernelI19rocblas_complex_numIfElPS3_EEvT0_S5_T1_S5_S5_llS6_S5_S5_ll
    .private_segment_fixed_size: 0
    .sgpr_count:     48
    .sgpr_spill_count: 0
    .symbol:         _ZN9rocsolver6v33100L36nonunit_backward_substitution_kernelI19rocblas_complex_numIfElPS3_EEvT0_S5_T1_S5_S5_llS6_S5_S5_ll.kd
    .uniform_work_group_size: 1
    .uses_dynamic_stack: false
    .vgpr_count:     20
    .vgpr_spill_count: 0
    .wavefront_size: 64
  - .agpr_count:     0
    .args:
      - .offset:         0
        .size:           8
        .value_kind:     by_value
      - .offset:         8
        .size:           8
        .value_kind:     by_value
      - .address_space:  global
        .offset:         16
        .size:           8
        .value_kind:     global_buffer
      - .offset:         24
        .size:           8
        .value_kind:     by_value
      - .offset:         32
        .size:           8
        .value_kind:     by_value
      - .offset:         40
        .size:           8
        .value_kind:     by_value
      - .offset:         48
        .size:           8
        .value_kind:     by_value
      - .address_space:  global
        .offset:         56
        .size:           8
        .value_kind:     global_buffer
      - .offset:         64
        .size:           8
        .value_kind:     by_value
      - .offset:         72
        .size:           8
        .value_kind:     by_value
      - .offset:         80
        .size:           8
        .value_kind:     by_value
      - .offset:         88
        .size:           8
        .value_kind:     by_value
      - .offset:         96
        .size:           4
        .value_kind:     hidden_block_count_x
      - .offset:         100
        .size:           4
        .value_kind:     hidden_block_count_y
      - .offset:         104
        .size:           4
        .value_kind:     hidden_block_count_z
      - .offset:         108
        .size:           2
        .value_kind:     hidden_group_size_x
      - .offset:         110
        .size:           2
        .value_kind:     hidden_group_size_y
      - .offset:         112
        .size:           2
        .value_kind:     hidden_group_size_z
      - .offset:         114
        .size:           2
        .value_kind:     hidden_remainder_x
      - .offset:         116
        .size:           2
        .value_kind:     hidden_remainder_y
      - .offset:         118
        .size:           2
        .value_kind:     hidden_remainder_z
      - .offset:         136
        .size:           8
        .value_kind:     hidden_global_offset_x
      - .offset:         144
        .size:           8
        .value_kind:     hidden_global_offset_y
      - .offset:         152
        .size:           8
        .value_kind:     hidden_global_offset_z
      - .offset:         160
        .size:           2
        .value_kind:     hidden_grid_dims
      - .offset:         216
        .size:           4
        .value_kind:     hidden_dynamic_lds_size
    .group_segment_fixed_size: 0
    .kernarg_segment_align: 8
    .kernarg_segment_size: 352
    .language:       OpenCL C
    .language_version:
      - 2
      - 0
    .max_flat_workgroup_size: 1024
    .name:           _ZN9rocsolver6v33100L37conj_unit_forward_substitution_kernelI19rocblas_complex_numIfElPKPS3_EEvT0_S7_T1_S7_S7_llS8_S7_S7_ll
    .private_segment_fixed_size: 0
    .sgpr_count:     32
    .sgpr_spill_count: 0
    .symbol:         _ZN9rocsolver6v33100L37conj_unit_forward_substitution_kernelI19rocblas_complex_numIfElPKPS3_EEvT0_S7_T1_S7_S7_llS8_S7_S7_ll.kd
    .uniform_work_group_size: 1
    .uses_dynamic_stack: false
    .vgpr_count:     18
    .vgpr_spill_count: 0
    .wavefront_size: 64
  - .agpr_count:     0
    .args:
      - .offset:         0
        .size:           8
        .value_kind:     by_value
      - .offset:         8
        .size:           8
        .value_kind:     by_value
      - .address_space:  global
        .offset:         16
        .size:           8
        .value_kind:     global_buffer
      - .offset:         24
        .size:           8
        .value_kind:     by_value
      - .offset:         32
        .size:           8
        .value_kind:     by_value
      - .offset:         40
        .size:           8
        .value_kind:     by_value
      - .offset:         48
        .size:           8
        .value_kind:     by_value
      - .address_space:  global
        .offset:         56
        .size:           8
        .value_kind:     global_buffer
      - .offset:         64
        .size:           8
        .value_kind:     by_value
      - .offset:         72
        .size:           8
        .value_kind:     by_value
      - .offset:         80
        .size:           8
        .value_kind:     by_value
      - .offset:         88
        .size:           8
        .value_kind:     by_value
      - .offset:         96
        .size:           4
        .value_kind:     hidden_block_count_x
      - .offset:         100
        .size:           4
        .value_kind:     hidden_block_count_y
      - .offset:         104
        .size:           4
        .value_kind:     hidden_block_count_z
      - .offset:         108
        .size:           2
        .value_kind:     hidden_group_size_x
      - .offset:         110
        .size:           2
        .value_kind:     hidden_group_size_y
      - .offset:         112
        .size:           2
        .value_kind:     hidden_group_size_z
      - .offset:         114
        .size:           2
        .value_kind:     hidden_remainder_x
      - .offset:         116
        .size:           2
        .value_kind:     hidden_remainder_y
      - .offset:         118
        .size:           2
        .value_kind:     hidden_remainder_z
      - .offset:         136
        .size:           8
        .value_kind:     hidden_global_offset_x
      - .offset:         144
        .size:           8
        .value_kind:     hidden_global_offset_y
      - .offset:         152
        .size:           8
        .value_kind:     hidden_global_offset_z
      - .offset:         160
        .size:           2
        .value_kind:     hidden_grid_dims
      - .offset:         216
        .size:           4
        .value_kind:     hidden_dynamic_lds_size
    .group_segment_fixed_size: 0
    .kernarg_segment_align: 8
    .kernarg_segment_size: 352
    .language:       OpenCL C
    .language_version:
      - 2
      - 0
    .max_flat_workgroup_size: 1024
    .name:           _ZN9rocsolver6v33100L40conj_nonunit_forward_substitution_kernelI19rocblas_complex_numIfElPKPS3_EEvT0_S7_T1_S7_S7_llS8_S7_S7_ll
    .private_segment_fixed_size: 0
    .sgpr_count:     32
    .sgpr_spill_count: 0
    .symbol:         _ZN9rocsolver6v33100L40conj_nonunit_forward_substitution_kernelI19rocblas_complex_numIfElPKPS3_EEvT0_S7_T1_S7_S7_llS8_S7_S7_ll.kd
    .uniform_work_group_size: 1
    .uses_dynamic_stack: false
    .vgpr_count:     20
    .vgpr_spill_count: 0
    .wavefront_size: 64
  - .agpr_count:     0
    .args:
      - .offset:         0
        .size:           8
        .value_kind:     by_value
      - .offset:         8
        .size:           8
        .value_kind:     by_value
      - .address_space:  global
        .offset:         16
        .size:           8
        .value_kind:     global_buffer
      - .offset:         24
        .size:           8
        .value_kind:     by_value
      - .offset:         32
        .size:           8
        .value_kind:     by_value
      - .offset:         40
        .size:           8
        .value_kind:     by_value
      - .offset:         48
        .size:           8
        .value_kind:     by_value
      - .address_space:  global
        .offset:         56
        .size:           8
        .value_kind:     global_buffer
      - .offset:         64
        .size:           8
        .value_kind:     by_value
      - .offset:         72
        .size:           8
        .value_kind:     by_value
      - .offset:         80
        .size:           8
        .value_kind:     by_value
      - .offset:         88
        .size:           8
        .value_kind:     by_value
      - .offset:         96
        .size:           4
        .value_kind:     hidden_block_count_x
      - .offset:         100
        .size:           4
        .value_kind:     hidden_block_count_y
      - .offset:         104
        .size:           4
        .value_kind:     hidden_block_count_z
      - .offset:         108
        .size:           2
        .value_kind:     hidden_group_size_x
      - .offset:         110
        .size:           2
        .value_kind:     hidden_group_size_y
      - .offset:         112
        .size:           2
        .value_kind:     hidden_group_size_z
      - .offset:         114
        .size:           2
        .value_kind:     hidden_remainder_x
      - .offset:         116
        .size:           2
        .value_kind:     hidden_remainder_y
      - .offset:         118
        .size:           2
        .value_kind:     hidden_remainder_z
      - .offset:         136
        .size:           8
        .value_kind:     hidden_global_offset_x
      - .offset:         144
        .size:           8
        .value_kind:     hidden_global_offset_y
      - .offset:         152
        .size:           8
        .value_kind:     hidden_global_offset_z
      - .offset:         160
        .size:           2
        .value_kind:     hidden_grid_dims
      - .offset:         216
        .size:           4
        .value_kind:     hidden_dynamic_lds_size
    .group_segment_fixed_size: 0
    .kernarg_segment_align: 8
    .kernarg_segment_size: 352
    .language:       OpenCL C
    .language_version:
      - 2
      - 0
    .max_flat_workgroup_size: 1024
    .name:           _ZN9rocsolver6v33100L32unit_forward_substitution_kernelI19rocblas_complex_numIfElPKPS3_EEvT0_S7_T1_S7_S7_llS8_S7_S7_ll
    .private_segment_fixed_size: 0
    .sgpr_count:     32
    .sgpr_spill_count: 0
    .symbol:         _ZN9rocsolver6v33100L32unit_forward_substitution_kernelI19rocblas_complex_numIfElPKPS3_EEvT0_S7_T1_S7_S7_llS8_S7_S7_ll.kd
    .uniform_work_group_size: 1
    .uses_dynamic_stack: false
    .vgpr_count:     18
    .vgpr_spill_count: 0
    .wavefront_size: 64
  - .agpr_count:     0
    .args:
      - .offset:         0
        .size:           8
        .value_kind:     by_value
      - .offset:         8
        .size:           8
        .value_kind:     by_value
      - .address_space:  global
        .offset:         16
        .size:           8
        .value_kind:     global_buffer
      - .offset:         24
        .size:           8
        .value_kind:     by_value
      - .offset:         32
        .size:           8
        .value_kind:     by_value
      - .offset:         40
        .size:           8
        .value_kind:     by_value
      - .offset:         48
        .size:           8
        .value_kind:     by_value
      - .address_space:  global
        .offset:         56
        .size:           8
        .value_kind:     global_buffer
      - .offset:         64
        .size:           8
        .value_kind:     by_value
      - .offset:         72
        .size:           8
        .value_kind:     by_value
      - .offset:         80
        .size:           8
        .value_kind:     by_value
      - .offset:         88
        .size:           8
        .value_kind:     by_value
      - .offset:         96
        .size:           4
        .value_kind:     hidden_block_count_x
      - .offset:         100
        .size:           4
        .value_kind:     hidden_block_count_y
      - .offset:         104
        .size:           4
        .value_kind:     hidden_block_count_z
      - .offset:         108
        .size:           2
        .value_kind:     hidden_group_size_x
      - .offset:         110
        .size:           2
        .value_kind:     hidden_group_size_y
      - .offset:         112
        .size:           2
        .value_kind:     hidden_group_size_z
      - .offset:         114
        .size:           2
        .value_kind:     hidden_remainder_x
      - .offset:         116
        .size:           2
        .value_kind:     hidden_remainder_y
      - .offset:         118
        .size:           2
        .value_kind:     hidden_remainder_z
      - .offset:         136
        .size:           8
        .value_kind:     hidden_global_offset_x
      - .offset:         144
        .size:           8
        .value_kind:     hidden_global_offset_y
      - .offset:         152
        .size:           8
        .value_kind:     hidden_global_offset_z
      - .offset:         160
        .size:           2
        .value_kind:     hidden_grid_dims
      - .offset:         216
        .size:           4
        .value_kind:     hidden_dynamic_lds_size
    .group_segment_fixed_size: 0
    .kernarg_segment_align: 8
    .kernarg_segment_size: 352
    .language:       OpenCL C
    .language_version:
      - 2
      - 0
    .max_flat_workgroup_size: 1024
    .name:           _ZN9rocsolver6v33100L35nonunit_forward_substitution_kernelI19rocblas_complex_numIfElPKPS3_EEvT0_S7_T1_S7_S7_llS8_S7_S7_ll
    .private_segment_fixed_size: 0
    .sgpr_count:     32
    .sgpr_spill_count: 0
    .symbol:         _ZN9rocsolver6v33100L35nonunit_forward_substitution_kernelI19rocblas_complex_numIfElPKPS3_EEvT0_S7_T1_S7_S7_llS8_S7_S7_ll.kd
    .uniform_work_group_size: 1
    .uses_dynamic_stack: false
    .vgpr_count:     20
    .vgpr_spill_count: 0
    .wavefront_size: 64
  - .agpr_count:     0
    .args:
      - .offset:         0
        .size:           8
        .value_kind:     by_value
      - .offset:         8
        .size:           8
        .value_kind:     by_value
      - .address_space:  global
        .offset:         16
        .size:           8
        .value_kind:     global_buffer
      - .offset:         24
        .size:           8
        .value_kind:     by_value
      - .offset:         32
        .size:           8
        .value_kind:     by_value
      - .offset:         40
        .size:           8
        .value_kind:     by_value
      - .offset:         48
        .size:           8
        .value_kind:     by_value
      - .address_space:  global
        .offset:         56
        .size:           8
        .value_kind:     global_buffer
      - .offset:         64
        .size:           8
        .value_kind:     by_value
      - .offset:         72
        .size:           8
        .value_kind:     by_value
      - .offset:         80
        .size:           8
        .value_kind:     by_value
      - .offset:         88
        .size:           8
        .value_kind:     by_value
      - .offset:         96
        .size:           4
        .value_kind:     hidden_block_count_x
      - .offset:         100
        .size:           4
        .value_kind:     hidden_block_count_y
      - .offset:         104
        .size:           4
        .value_kind:     hidden_block_count_z
      - .offset:         108
        .size:           2
        .value_kind:     hidden_group_size_x
      - .offset:         110
        .size:           2
        .value_kind:     hidden_group_size_y
      - .offset:         112
        .size:           2
        .value_kind:     hidden_group_size_z
      - .offset:         114
        .size:           2
        .value_kind:     hidden_remainder_x
      - .offset:         116
        .size:           2
        .value_kind:     hidden_remainder_y
      - .offset:         118
        .size:           2
        .value_kind:     hidden_remainder_z
      - .offset:         136
        .size:           8
        .value_kind:     hidden_global_offset_x
      - .offset:         144
        .size:           8
        .value_kind:     hidden_global_offset_y
      - .offset:         152
        .size:           8
        .value_kind:     hidden_global_offset_z
      - .offset:         160
        .size:           2
        .value_kind:     hidden_grid_dims
      - .offset:         216
        .size:           4
        .value_kind:     hidden_dynamic_lds_size
    .group_segment_fixed_size: 0
    .kernarg_segment_align: 8
    .kernarg_segment_size: 352
    .language:       OpenCL C
    .language_version:
      - 2
      - 0
    .max_flat_workgroup_size: 1024
    .name:           _ZN9rocsolver6v33100L38conj_unit_backward_substitution_kernelI19rocblas_complex_numIfElPKPS3_EEvT0_S7_T1_S7_S7_llS8_S7_S7_ll
    .private_segment_fixed_size: 0
    .sgpr_count:     32
    .sgpr_spill_count: 0
    .symbol:         _ZN9rocsolver6v33100L38conj_unit_backward_substitution_kernelI19rocblas_complex_numIfElPKPS3_EEvT0_S7_T1_S7_S7_llS8_S7_S7_ll.kd
    .uniform_work_group_size: 1
    .uses_dynamic_stack: false
    .vgpr_count:     18
    .vgpr_spill_count: 0
    .wavefront_size: 64
  - .agpr_count:     0
    .args:
      - .offset:         0
        .size:           8
        .value_kind:     by_value
      - .offset:         8
        .size:           8
        .value_kind:     by_value
      - .address_space:  global
        .offset:         16
        .size:           8
        .value_kind:     global_buffer
      - .offset:         24
        .size:           8
        .value_kind:     by_value
      - .offset:         32
        .size:           8
        .value_kind:     by_value
      - .offset:         40
        .size:           8
        .value_kind:     by_value
      - .offset:         48
        .size:           8
        .value_kind:     by_value
      - .address_space:  global
        .offset:         56
        .size:           8
        .value_kind:     global_buffer
      - .offset:         64
        .size:           8
        .value_kind:     by_value
      - .offset:         72
        .size:           8
        .value_kind:     by_value
      - .offset:         80
        .size:           8
        .value_kind:     by_value
      - .offset:         88
        .size:           8
        .value_kind:     by_value
      - .offset:         96
        .size:           4
        .value_kind:     hidden_block_count_x
      - .offset:         100
        .size:           4
        .value_kind:     hidden_block_count_y
      - .offset:         104
        .size:           4
        .value_kind:     hidden_block_count_z
      - .offset:         108
        .size:           2
        .value_kind:     hidden_group_size_x
      - .offset:         110
        .size:           2
        .value_kind:     hidden_group_size_y
      - .offset:         112
        .size:           2
        .value_kind:     hidden_group_size_z
      - .offset:         114
        .size:           2
        .value_kind:     hidden_remainder_x
      - .offset:         116
        .size:           2
        .value_kind:     hidden_remainder_y
      - .offset:         118
        .size:           2
        .value_kind:     hidden_remainder_z
      - .offset:         136
        .size:           8
        .value_kind:     hidden_global_offset_x
      - .offset:         144
        .size:           8
        .value_kind:     hidden_global_offset_y
      - .offset:         152
        .size:           8
        .value_kind:     hidden_global_offset_z
      - .offset:         160
        .size:           2
        .value_kind:     hidden_grid_dims
      - .offset:         216
        .size:           4
        .value_kind:     hidden_dynamic_lds_size
    .group_segment_fixed_size: 0
    .kernarg_segment_align: 8
    .kernarg_segment_size: 352
    .language:       OpenCL C
    .language_version:
      - 2
      - 0
    .max_flat_workgroup_size: 1024
    .name:           _ZN9rocsolver6v33100L41conj_nonunit_backward_substitution_kernelI19rocblas_complex_numIfElPKPS3_EEvT0_S7_T1_S7_S7_llS8_S7_S7_ll
    .private_segment_fixed_size: 0
    .sgpr_count:     32
    .sgpr_spill_count: 0
    .symbol:         _ZN9rocsolver6v33100L41conj_nonunit_backward_substitution_kernelI19rocblas_complex_numIfElPKPS3_EEvT0_S7_T1_S7_S7_llS8_S7_S7_ll.kd
    .uniform_work_group_size: 1
    .uses_dynamic_stack: false
    .vgpr_count:     20
    .vgpr_spill_count: 0
    .wavefront_size: 64
  - .agpr_count:     0
    .args:
      - .offset:         0
        .size:           8
        .value_kind:     by_value
      - .offset:         8
        .size:           8
        .value_kind:     by_value
      - .address_space:  global
        .offset:         16
        .size:           8
        .value_kind:     global_buffer
      - .offset:         24
        .size:           8
        .value_kind:     by_value
      - .offset:         32
        .size:           8
        .value_kind:     by_value
      - .offset:         40
        .size:           8
        .value_kind:     by_value
      - .offset:         48
        .size:           8
        .value_kind:     by_value
      - .address_space:  global
        .offset:         56
        .size:           8
        .value_kind:     global_buffer
      - .offset:         64
        .size:           8
        .value_kind:     by_value
      - .offset:         72
        .size:           8
        .value_kind:     by_value
      - .offset:         80
        .size:           8
        .value_kind:     by_value
      - .offset:         88
        .size:           8
        .value_kind:     by_value
      - .offset:         96
        .size:           4
        .value_kind:     hidden_block_count_x
      - .offset:         100
        .size:           4
        .value_kind:     hidden_block_count_y
      - .offset:         104
        .size:           4
        .value_kind:     hidden_block_count_z
      - .offset:         108
        .size:           2
        .value_kind:     hidden_group_size_x
      - .offset:         110
        .size:           2
        .value_kind:     hidden_group_size_y
      - .offset:         112
        .size:           2
        .value_kind:     hidden_group_size_z
      - .offset:         114
        .size:           2
        .value_kind:     hidden_remainder_x
      - .offset:         116
        .size:           2
        .value_kind:     hidden_remainder_y
      - .offset:         118
        .size:           2
        .value_kind:     hidden_remainder_z
      - .offset:         136
        .size:           8
        .value_kind:     hidden_global_offset_x
      - .offset:         144
        .size:           8
        .value_kind:     hidden_global_offset_y
      - .offset:         152
        .size:           8
        .value_kind:     hidden_global_offset_z
      - .offset:         160
        .size:           2
        .value_kind:     hidden_grid_dims
      - .offset:         216
        .size:           4
        .value_kind:     hidden_dynamic_lds_size
    .group_segment_fixed_size: 0
    .kernarg_segment_align: 8
    .kernarg_segment_size: 352
    .language:       OpenCL C
    .language_version:
      - 2
      - 0
    .max_flat_workgroup_size: 1024
    .name:           _ZN9rocsolver6v33100L33unit_backward_substitution_kernelI19rocblas_complex_numIfElPKPS3_EEvT0_S7_T1_S7_S7_llS8_S7_S7_ll
    .private_segment_fixed_size: 0
    .sgpr_count:     32
    .sgpr_spill_count: 0
    .symbol:         _ZN9rocsolver6v33100L33unit_backward_substitution_kernelI19rocblas_complex_numIfElPKPS3_EEvT0_S7_T1_S7_S7_llS8_S7_S7_ll.kd
    .uniform_work_group_size: 1
    .uses_dynamic_stack: false
    .vgpr_count:     18
    .vgpr_spill_count: 0
    .wavefront_size: 64
  - .agpr_count:     0
    .args:
      - .offset:         0
        .size:           8
        .value_kind:     by_value
      - .offset:         8
        .size:           8
        .value_kind:     by_value
      - .address_space:  global
        .offset:         16
        .size:           8
        .value_kind:     global_buffer
      - .offset:         24
        .size:           8
        .value_kind:     by_value
      - .offset:         32
        .size:           8
        .value_kind:     by_value
      - .offset:         40
        .size:           8
        .value_kind:     by_value
      - .offset:         48
        .size:           8
        .value_kind:     by_value
      - .address_space:  global
        .offset:         56
        .size:           8
        .value_kind:     global_buffer
      - .offset:         64
        .size:           8
        .value_kind:     by_value
      - .offset:         72
        .size:           8
        .value_kind:     by_value
      - .offset:         80
        .size:           8
        .value_kind:     by_value
      - .offset:         88
        .size:           8
        .value_kind:     by_value
      - .offset:         96
        .size:           4
        .value_kind:     hidden_block_count_x
      - .offset:         100
        .size:           4
        .value_kind:     hidden_block_count_y
      - .offset:         104
        .size:           4
        .value_kind:     hidden_block_count_z
      - .offset:         108
        .size:           2
        .value_kind:     hidden_group_size_x
      - .offset:         110
        .size:           2
        .value_kind:     hidden_group_size_y
      - .offset:         112
        .size:           2
        .value_kind:     hidden_group_size_z
      - .offset:         114
        .size:           2
        .value_kind:     hidden_remainder_x
      - .offset:         116
        .size:           2
        .value_kind:     hidden_remainder_y
      - .offset:         118
        .size:           2
        .value_kind:     hidden_remainder_z
      - .offset:         136
        .size:           8
        .value_kind:     hidden_global_offset_x
      - .offset:         144
        .size:           8
        .value_kind:     hidden_global_offset_y
      - .offset:         152
        .size:           8
        .value_kind:     hidden_global_offset_z
      - .offset:         160
        .size:           2
        .value_kind:     hidden_grid_dims
      - .offset:         216
        .size:           4
        .value_kind:     hidden_dynamic_lds_size
    .group_segment_fixed_size: 0
    .kernarg_segment_align: 8
    .kernarg_segment_size: 352
    .language:       OpenCL C
    .language_version:
      - 2
      - 0
    .max_flat_workgroup_size: 1024
    .name:           _ZN9rocsolver6v33100L36nonunit_backward_substitution_kernelI19rocblas_complex_numIfElPKPS3_EEvT0_S7_T1_S7_S7_llS8_S7_S7_ll
    .private_segment_fixed_size: 0
    .sgpr_count:     32
    .sgpr_spill_count: 0
    .symbol:         _ZN9rocsolver6v33100L36nonunit_backward_substitution_kernelI19rocblas_complex_numIfElPKPS3_EEvT0_S7_T1_S7_S7_llS8_S7_S7_ll.kd
    .uniform_work_group_size: 1
    .uses_dynamic_stack: false
    .vgpr_count:     20
    .vgpr_spill_count: 0
    .wavefront_size: 64
amdhsa.target:   amdgcn-amd-amdhsa--gfx90a
amdhsa.version:
  - 1
  - 2
...

	.end_amdgpu_metadata
